;; amdgpu-corpus repo=ROCm/rocFFT kind=compiled arch=gfx906 opt=O3
	.text
	.amdgcn_target "amdgcn-amd-amdhsa--gfx906"
	.amdhsa_code_object_version 6
	.protected	fft_rtc_fwd_len80_factors_2_2_4_5_wgs_255_tpt_5_halfLds_dim2_sp_ip_CI_sbcc_twdbase8_2step_dirReg ; -- Begin function fft_rtc_fwd_len80_factors_2_2_4_5_wgs_255_tpt_5_halfLds_dim2_sp_ip_CI_sbcc_twdbase8_2step_dirReg
	.globl	fft_rtc_fwd_len80_factors_2_2_4_5_wgs_255_tpt_5_halfLds_dim2_sp_ip_CI_sbcc_twdbase8_2step_dirReg
	.p2align	8
	.type	fft_rtc_fwd_len80_factors_2_2_4_5_wgs_255_tpt_5_halfLds_dim2_sp_ip_CI_sbcc_twdbase8_2step_dirReg,@function
fft_rtc_fwd_len80_factors_2_2_4_5_wgs_255_tpt_5_halfLds_dim2_sp_ip_CI_sbcc_twdbase8_2step_dirReg: ; @fft_rtc_fwd_len80_factors_2_2_4_5_wgs_255_tpt_5_halfLds_dim2_sp_ip_CI_sbcc_twdbase8_2step_dirReg
; %bb.0:
	s_load_dwordx4 s[0:3], s[4:5], 0x10
	s_mov_b32 s7, 0
	s_mov_b64 s[20:21], -1
	s_waitcnt lgkmcnt(0)
	s_load_dwordx2 s[16:17], s[0:1], 0x8
	s_load_dwordx2 s[14:15], s[4:5], 0x50
	;; [unrolled: 1-line block ×3, first 2 shown]
	s_waitcnt lgkmcnt(0)
	s_add_u32 s0, s16, -1
	s_addc_u32 s1, s17, -1
	s_add_u32 s8, 0, 0x504ad00
	s_addc_u32 s9, 0, 21
	s_add_i32 s9, s9, 0x50504f0
	s_mul_hi_u32 s19, s8, 0xffffffcd
	s_sub_i32 s19, s19, s8
	s_mul_i32 s22, s9, 0xffffffcd
	s_mul_i32 s10, s8, 0xffffffcd
	s_add_i32 s19, s19, s22
	s_mul_hi_u32 s11, s9, s10
	s_mul_i32 s18, s9, s10
	s_mul_i32 s23, s8, s19
	s_mul_hi_u32 s10, s8, s10
	s_mul_hi_u32 s22, s8, s19
	s_add_u32 s10, s10, s23
	s_addc_u32 s22, 0, s22
	s_add_u32 s10, s10, s18
	s_mul_hi_u32 s23, s9, s19
	s_addc_u32 s10, s22, s11
	s_addc_u32 s11, s23, 0
	s_mul_i32 s18, s9, s19
	s_add_u32 s10, s10, s18
	v_mov_b32_e32 v1, s10
	s_addc_u32 s11, 0, s11
	v_add_co_u32_e32 v1, vcc, s8, v1
	s_cmp_lg_u64 vcc, 0
	s_addc_u32 s8, s9, s11
	v_readfirstlane_b32 s11, v1
	s_mul_i32 s10, s0, s8
	s_mul_hi_u32 s18, s0, s11
	s_mul_hi_u32 s9, s0, s8
	s_add_u32 s10, s18, s10
	s_addc_u32 s9, 0, s9
	s_mul_hi_u32 s19, s1, s11
	s_mul_i32 s11, s1, s11
	s_add_u32 s10, s10, s11
	s_mul_hi_u32 s18, s1, s8
	s_addc_u32 s9, s9, s19
	s_addc_u32 s10, s18, 0
	s_mul_i32 s8, s1, s8
	s_add_u32 s8, s9, s8
	s_addc_u32 s9, 0, s10
	s_add_u32 s10, s8, 1
	s_addc_u32 s11, s9, 0
	s_add_u32 s18, s8, 2
	s_mul_i32 s22, s9, 51
	s_mul_hi_u32 s23, s8, 51
	s_addc_u32 s19, s9, 0
	s_add_i32 s23, s23, s22
	s_mul_i32 s22, s8, 51
	v_mov_b32_e32 v1, s22
	v_sub_co_u32_e32 v1, vcc, s0, v1
	s_cmp_lg_u64 vcc, 0
	s_subb_u32 s0, s1, s23
	v_subrev_co_u32_e32 v2, vcc, 51, v1
	s_cmp_lg_u64 vcc, 0
	s_subb_u32 s1, s0, 0
	v_readfirstlane_b32 s22, v2
	s_cmp_gt_u32 s22, 50
	s_cselect_b32 s22, -1, 0
	s_cmp_eq_u32 s1, 0
	s_cselect_b32 s1, s22, -1
	s_cmp_lg_u32 s1, 0
	s_cselect_b32 s1, s18, s10
	s_cselect_b32 s10, s19, s11
	v_readfirstlane_b32 s11, v1
	s_cmp_gt_u32 s11, 50
	s_cselect_b32 s11, -1, 0
	s_cmp_eq_u32 s0, 0
	s_cselect_b32 s0, s11, -1
	s_cmp_lg_u32 s0, 0
	s_cselect_b32 s0, s1, s8
	s_cselect_b32 s9, s10, s9
	s_add_u32 s0, s0, 1
	s_addc_u32 s1, s9, 0
	v_mov_b32_e32 v2, s1
	v_mov_b32_e32 v1, s0
	v_cmp_lt_u64_e32 vcc, s[6:7], v[1:2]
	s_mov_b64 s[22:23], 0
	s_cbranch_vccnz .LBB0_2
; %bb.1:
	v_cvt_f32_u32_e32 v1, s0
	s_sub_i32 s7, 0, s0
	v_rcp_iflag_f32_e32 v1, v1
	v_mul_f32_e32 v1, 0x4f7ffffe, v1
	v_cvt_u32_f32_e32 v1, v1
	v_readfirstlane_b32 s8, v1
	s_mul_i32 s7, s7, s8
	s_mul_hi_u32 s7, s8, s7
	s_add_i32 s8, s8, s7
	s_mul_hi_u32 s7, s6, s8
	s_mul_i32 s9, s7, s0
	s_sub_i32 s9, s6, s9
	s_add_i32 s8, s7, 1
	s_sub_i32 s10, s9, s0
	s_cmp_ge_u32 s9, s0
	s_cselect_b32 s7, s8, s7
	s_cselect_b32 s9, s10, s9
	s_add_i32 s8, s7, 1
	s_cmp_ge_u32 s9, s0
	s_cselect_b32 s22, s8, s7
.LBB0_2:
	s_mul_i32 s1, s22, s1
	s_mul_hi_u32 s7, s22, s0
	s_load_dwordx4 s[8:11], s[2:3], 0x8
	s_add_i32 s7, s7, s1
	s_mul_i32 s0, s22, s0
	s_sub_u32 s0, s6, s0
	s_subb_u32 s1, 0, s7
	s_mul_i32 s1, s1, 51
	s_mul_hi_u32 s2, s0, 51
	s_mul_i32 s0, s0, 51
	s_add_i32 s1, s2, s1
	s_waitcnt lgkmcnt(0)
	s_mul_i32 s3, s0, s9
	s_mul_hi_u32 s6, s0, s8
	v_mul_u32_u24_e32 v1, 0x506, v0
	s_mul_i32 s2, s1, s8
	s_add_i32 s3, s6, s3
	s_mul_i32 s6, s11, s22
	s_mul_hi_u32 s7, s10, s22
	v_lshrrev_b32_e32 v64, 16, v1
	s_add_i32 s3, s3, s2
	s_mul_i32 s2, s0, s8
	s_add_i32 s7, s7, s6
	s_mul_i32 s6, s10, s22
	v_mul_lo_u16_e32 v1, 51, v64
	s_add_u32 s6, s6, s2
	v_sub_u16_e32 v63, v0, v1
	s_addc_u32 s7, s7, s3
	v_mov_b32_e32 v1, s1
	v_add_co_u32_e32 v17, vcc, s0, v63
	s_load_dwordx2 s[18:19], s[4:5], 0x0
	v_addc_co_u32_e32 v18, vcc, 0, v1, vcc
	s_add_u32 s0, s0, 51
	v_mov_b32_e32 v1, s16
	s_addc_u32 s1, s1, 0
	v_mov_b32_e32 v2, s17
	v_cmp_gt_u64_e32 vcc, s[0:1], v[1:2]
	v_cmp_le_u64_e64 s[0:1], s[0:1], v[1:2]
	s_and_b64 vcc, exec, vcc
	v_add_u32_e32 v36, 5, v64
	v_add_u32_e32 v37, 10, v64
	;; [unrolled: 1-line block ×7, first 2 shown]
	s_cbranch_vccnz .LBB0_4
; %bb.3:
	v_mad_u64_u32 v[1:2], s[2:3], s8, v63, 0
	v_mad_u64_u32 v[3:4], s[2:3], s12, v64, 0
	v_or_b32_e32 v8, 40, v64
	v_add_u32_e32 v66, 5, v64
	v_mad_u64_u32 v[5:6], s[2:3], s9, v63, v[2:3]
	v_mov_b32_e32 v2, v4
	v_mad_u64_u32 v[6:7], s[2:3], s13, v64, v[2:3]
	s_lshl_b64 s[2:3], s[6:7], 3
	s_add_u32 s10, s14, s2
	s_addc_u32 s2, s15, s3
	v_mov_b32_e32 v2, v5
	v_mov_b32_e32 v4, v6
	;; [unrolled: 1-line block ×3, first 2 shown]
	v_mad_u64_u32 v[5:6], s[2:3], s12, v8, 0
	v_lshlrev_b64 v[1:2], 3, v[1:2]
	v_add_u32_e32 v65, 10, v64
	v_add_co_u32_e32 v9, vcc, s10, v1
	v_addc_co_u32_e32 v10, vcc, v7, v2, vcc
	v_lshlrev_b64 v[1:2], 3, v[3:4]
	v_mov_b32_e32 v3, v6
	v_mad_u64_u32 v[3:4], s[2:3], s13, v8, v[3:4]
	v_mad_u64_u32 v[7:8], s[2:3], s12, v66, 0
	v_add_co_u32_e32 v33, vcc, v9, v1
	v_mov_b32_e32 v6, v3
	v_mov_b32_e32 v3, v8
	v_addc_co_u32_e32 v34, vcc, v10, v2, vcc
	v_lshlrev_b64 v[1:2], 3, v[5:6]
	v_mad_u64_u32 v[3:4], s[2:3], s13, v66, v[3:4]
	v_add_u32_e32 v6, 45, v64
	v_mad_u64_u32 v[4:5], s[2:3], s12, v6, 0
	v_mov_b32_e32 v8, v3
	v_add_co_u32_e32 v47, vcc, v9, v1
	v_mov_b32_e32 v3, v5
	v_mad_u64_u32 v[5:6], s[2:3], s13, v6, v[3:4]
	v_addc_co_u32_e32 v48, vcc, v10, v2, vcc
	v_lshlrev_b64 v[1:2], 3, v[7:8]
	v_mad_u64_u32 v[6:7], s[2:3], s12, v65, 0
	v_add_co_u32_e32 v49, vcc, v9, v1
	v_mov_b32_e32 v3, v7
	v_addc_co_u32_e32 v50, vcc, v10, v2, vcc
	v_lshlrev_b64 v[1:2], 3, v[4:5]
	v_mad_u64_u32 v[3:4], s[2:3], s13, v65, v[3:4]
	v_add_u32_e32 v8, 50, v64
	v_mad_u64_u32 v[4:5], s[2:3], s12, v8, 0
	v_add_co_u32_e32 v51, vcc, v9, v1
	v_mov_b32_e32 v7, v3
	v_mov_b32_e32 v3, v5
	v_addc_co_u32_e32 v52, vcc, v10, v2, vcc
	v_lshlrev_b64 v[1:2], 3, v[6:7]
	v_mad_u64_u32 v[5:6], s[2:3], s13, v8, v[3:4]
	v_add_u32_e32 v35, 15, v64
	v_mad_u64_u32 v[6:7], s[2:3], s12, v35, 0
	v_add_co_u32_e32 v53, vcc, v9, v1
	v_mov_b32_e32 v3, v7
	v_addc_co_u32_e32 v54, vcc, v10, v2, vcc
	v_lshlrev_b64 v[1:2], 3, v[4:5]
	v_mad_u64_u32 v[3:4], s[2:3], s13, v35, v[3:4]
	v_add_u32_e32 v8, 55, v64
	v_mad_u64_u32 v[4:5], s[2:3], s12, v8, 0
	v_add_co_u32_e32 v55, vcc, v9, v1
	v_mov_b32_e32 v7, v3
	v_mov_b32_e32 v3, v5
	v_addc_co_u32_e32 v56, vcc, v10, v2, vcc
	v_lshlrev_b64 v[1:2], 3, v[6:7]
	v_mad_u64_u32 v[5:6], s[2:3], s13, v8, v[3:4]
	v_add_u32_e32 v43, 20, v64
	;; [unrolled: 15-line block ×5, first 2 shown]
	v_mad_u64_u32 v[6:7], s[2:3], s12, v46, 0
	v_add_co_u32_e32 v73, vcc, v9, v1
	v_mov_b32_e32 v3, v7
	v_addc_co_u32_e32 v74, vcc, v10, v2, vcc
	v_lshlrev_b64 v[1:2], 3, v[4:5]
	v_mad_u64_u32 v[3:4], s[2:3], s13, v46, v[3:4]
	v_add_u32_e32 v8, 0x4b, v64
	v_mad_u64_u32 v[4:5], s[2:3], s12, v8, 0
	v_add_co_u32_e32 v75, vcc, v9, v1
	v_mov_b32_e32 v7, v3
	v_mov_b32_e32 v3, v5
	v_addc_co_u32_e32 v76, vcc, v10, v2, vcc
	v_lshlrev_b64 v[1:2], 3, v[6:7]
	v_mad_u64_u32 v[5:6], s[2:3], s13, v8, v[3:4]
	v_add_co_u32_e32 v77, vcc, v9, v1
	v_addc_co_u32_e32 v78, vcc, v10, v2, vcc
	v_lshlrev_b64 v[1:2], 3, v[4:5]
	v_add_co_u32_e32 v79, vcc, v9, v1
	v_addc_co_u32_e32 v80, vcc, v10, v2, vcc
	global_load_dwordx2 v[15:16], v[33:34], off
	global_load_dwordx2 v[19:20], v[47:48], off
	;; [unrolled: 1-line block ×15, first 2 shown]
                                        ; kill: killed $vgpr71 killed $vgpr72
                                        ; kill: killed $vgpr53 killed $vgpr54
                                        ; kill: killed $vgpr73 killed $vgpr74
                                        ; kill: killed $vgpr47 killed $vgpr48
                                        ; kill: killed $vgpr67 killed $vgpr68
                                        ; kill: killed $vgpr49 killed $vgpr50
                                        ; kill: killed $vgpr69 killed $vgpr70
                                        ; kill: killed $vgpr59 killed $vgpr60
                                        ; kill: killed $vgpr33 killed $vgpr34
                                        ; kill: killed $vgpr61 killed $vgpr62
                                        ; kill: killed $vgpr55 killed $vgpr56
                                        ; kill: killed $vgpr75 killed $vgpr76
                                        ; kill: killed $vgpr57 killed $vgpr58
                                        ; kill: killed $vgpr77 killed $vgpr78
                                        ; kill: killed $vgpr51 killed $vgpr52
	global_load_dwordx2 v[33:34], v[79:80], off
	s_cbranch_execz .LBB0_5
	s_branch .LBB0_10
.LBB0_4:
                                        ; implicit-def: $vgpr1
                                        ; implicit-def: $vgpr5
                                        ; implicit-def: $vgpr13
                                        ; implicit-def: $vgpr33
                                        ; implicit-def: $vgpr27
                                        ; implicit-def: $vgpr31
                                        ; implicit-def: $vgpr29
                                        ; implicit-def: $vgpr66
                                        ; implicit-def: $vgpr65
                                        ; implicit-def: $vgpr35
                                        ; implicit-def: $vgpr43
                                        ; implicit-def: $vgpr44
                                        ; implicit-def: $vgpr45
                                        ; implicit-def: $vgpr46
                                        ; implicit-def: $vgpr21
                                        ; implicit-def: $vgpr25
                                        ; implicit-def: $vgpr23
                                        ; implicit-def: $vgpr7
                                        ; implicit-def: $vgpr11
                                        ; implicit-def: $vgpr9
                                        ; implicit-def: $vgpr3
                                        ; implicit-def: $vgpr19
                                        ; implicit-def: $vgpr15
	s_andn2_b64 vcc, exec, s[20:21]
	s_cbranch_vccnz .LBB0_10
.LBB0_5:
	v_cmp_le_u64_e32 vcc, s[16:17], v[17:18]
                                        ; implicit-def: $vgpr66
                                        ; implicit-def: $vgpr65
                                        ; implicit-def: $vgpr35
                                        ; implicit-def: $vgpr43
                                        ; implicit-def: $vgpr44
                                        ; implicit-def: $vgpr45
                                        ; implicit-def: $vgpr46
	s_and_saveexec_b64 s[2:3], vcc
	s_xor_b64 s[2:3], exec, s[2:3]
; %bb.6:
	v_add_u32_e32 v66, 5, v64
	v_add_u32_e32 v65, 10, v64
	;; [unrolled: 1-line block ×7, first 2 shown]
                                        ; implicit-def: $vgpr36
                                        ; implicit-def: $vgpr37
                                        ; implicit-def: $vgpr38
                                        ; implicit-def: $vgpr39
                                        ; implicit-def: $vgpr40
                                        ; implicit-def: $vgpr41
                                        ; implicit-def: $vgpr42
; %bb.7:
	s_or_saveexec_b64 s[2:3], s[2:3]
                                        ; implicit-def: $vgpr1
                                        ; implicit-def: $vgpr5
                                        ; implicit-def: $vgpr13
                                        ; implicit-def: $vgpr33
                                        ; implicit-def: $vgpr27
                                        ; implicit-def: $vgpr31
                                        ; implicit-def: $vgpr29
                                        ; implicit-def: $vgpr21
                                        ; implicit-def: $vgpr25
                                        ; implicit-def: $vgpr23
                                        ; implicit-def: $vgpr7
                                        ; implicit-def: $vgpr11
                                        ; implicit-def: $vgpr9
                                        ; implicit-def: $vgpr3
                                        ; implicit-def: $vgpr19
                                        ; implicit-def: $vgpr15
	s_xor_b64 exec, exec, s[2:3]
	s_cbranch_execz .LBB0_9
; %bb.8:
	s_waitcnt vmcnt(12)
	v_mad_u64_u32 v[1:2], s[10:11], s8, v63, 0
	v_mad_u64_u32 v[3:4], s[10:11], s12, v64, 0
	s_waitcnt vmcnt(9)
	v_or_b32_e32 v8, 40, v64
	s_waitcnt vmcnt(2)
	v_add_u32_e32 v32, 60, v64
	v_mad_u64_u32 v[5:6], s[10:11], s9, v63, v[2:3]
	v_mov_b32_e32 v2, v4
	v_mad_u64_u32 v[6:7], s[10:11], s13, v64, v[2:3]
	s_lshl_b64 s[10:11], s[6:7], 3
	s_add_u32 s20, s14, s10
	s_addc_u32 s10, s15, s11
	v_mov_b32_e32 v2, v5
	v_mov_b32_e32 v4, v6
	;; [unrolled: 1-line block ×3, first 2 shown]
	v_mad_u64_u32 v[5:6], s[10:11], s12, v8, 0
	v_lshlrev_b64 v[1:2], 3, v[1:2]
	v_mad_u64_u32 v[13:14], s[10:11], s12, v37, 0
	v_add_co_u32_e32 v49, vcc, s20, v1
	v_addc_co_u32_e32 v50, vcc, v7, v2, vcc
	v_lshlrev_b64 v[1:2], 3, v[3:4]
	v_mov_b32_e32 v3, v6
	v_mad_u64_u32 v[3:4], s[10:11], s13, v8, v[3:4]
	v_mad_u64_u32 v[7:8], s[10:11], s12, v36, 0
	v_add_co_u32_e32 v9, vcc, v49, v1
	v_mov_b32_e32 v6, v3
	v_mov_b32_e32 v3, v8
	v_addc_co_u32_e32 v10, vcc, v50, v2, vcc
	v_lshlrev_b64 v[1:2], 3, v[5:6]
	v_mad_u64_u32 v[3:4], s[10:11], s13, v36, v[3:4]
	v_add_u32_e32 v6, 45, v64
	v_mad_u64_u32 v[4:5], s[10:11], s12, v6, 0
	v_mov_b32_e32 v8, v3
	v_add_co_u32_e32 v11, vcc, v49, v1
	v_mov_b32_e32 v3, v5
	v_mad_u64_u32 v[5:6], s[10:11], s13, v6, v[3:4]
	v_addc_co_u32_e32 v12, vcc, v50, v2, vcc
	v_lshlrev_b64 v[1:2], 3, v[7:8]
	v_add_u32_e32 v8, 50, v64
	v_add_co_u32_e32 v6, vcc, v49, v1
	v_addc_co_u32_e32 v7, vcc, v50, v2, vcc
	v_lshlrev_b64 v[1:2], 3, v[4:5]
	v_mad_u64_u32 v[23:24], s[10:11], s12, v8, 0
	v_add_co_u32_e32 v21, vcc, v49, v1
	v_mov_b32_e32 v1, v14
	v_mad_u64_u32 v[14:15], s[10:11], s13, v37, v[1:2]
	v_addc_co_u32_e32 v22, vcc, v50, v2, vcc
	global_load_dwordx2 v[15:16], v[9:10], off
	global_load_dwordx2 v[19:20], v[11:12], off
	;; [unrolled: 1-line block ×4, first 2 shown]
	v_mov_b32_e32 v7, v24
	v_mad_u64_u32 v[7:8], s[10:11], s13, v8, v[7:8]
	v_mad_u64_u32 v[8:9], s[10:11], s12, v38, 0
	v_mov_b32_e32 v24, v7
	v_lshlrev_b64 v[5:6], 3, v[13:14]
	v_mov_b32_e32 v7, v9
	v_mad_u64_u32 v[9:10], s[10:11], s13, v38, v[7:8]
	v_add_u32_e32 v12, 55, v64
	v_mad_u64_u32 v[10:11], s[10:11], s12, v12, 0
	v_add_co_u32_e32 v13, vcc, v49, v5
	v_addc_co_u32_e32 v14, vcc, v50, v6, vcc
	v_lshlrev_b64 v[5:6], 3, v[23:24]
	v_mov_b32_e32 v7, v11
	v_add_co_u32_e32 v21, vcc, v49, v5
	v_addc_co_u32_e32 v22, vcc, v50, v6, vcc
	v_lshlrev_b64 v[5:6], 3, v[8:9]
	v_mad_u64_u32 v[7:8], s[10:11], s13, v12, v[7:8]
	v_mad_u64_u32 v[25:26], s[10:11], s12, v39, 0
	v_add_co_u32_e32 v23, vcc, v49, v5
	v_mov_b32_e32 v11, v7
	v_addc_co_u32_e32 v24, vcc, v50, v6, vcc
	v_lshlrev_b64 v[5:6], 3, v[10:11]
	s_waitcnt vmcnt(4)
	v_mad_u64_u32 v[33:34], s[10:11], s12, v41, 0
	v_add_co_u32_e32 v27, vcc, v49, v5
	v_mov_b32_e32 v5, v26
	v_mad_u64_u32 v[29:30], s[10:11], s13, v39, v[5:6]
	v_mad_u64_u32 v[30:31], s[10:11], s12, v32, 0
	v_addc_co_u32_e32 v28, vcc, v50, v6, vcc
	global_load_dwordx2 v[9:10], v[13:14], off
	global_load_dwordx2 v[11:12], v[21:22], off
	;; [unrolled: 1-line block ×4, first 2 shown]
	v_mov_b32_e32 v21, v31
	v_mad_u64_u32 v[21:22], s[10:11], s13, v32, v[21:22]
	v_mad_u64_u32 v[22:23], s[10:11], s12, v40, 0
	v_mov_b32_e32 v26, v29
	v_mov_b32_e32 v31, v21
	;; [unrolled: 1-line block ×3, first 2 shown]
	v_lshlrev_b64 v[13:14], 3, v[25:26]
	v_mad_u64_u32 v[23:24], s[10:11], s13, v40, v[21:22]
	v_add_u32_e32 v26, 0x41, v64
	v_mad_u64_u32 v[24:25], s[10:11], s12, v26, 0
	v_add_co_u32_e32 v27, vcc, v49, v13
	v_addc_co_u32_e32 v28, vcc, v50, v14, vcc
	v_lshlrev_b64 v[13:14], 3, v[30:31]
	v_mov_b32_e32 v21, v25
	v_add_co_u32_e32 v29, vcc, v49, v13
	v_addc_co_u32_e32 v30, vcc, v50, v14, vcc
	v_lshlrev_b64 v[13:14], 3, v[22:23]
	v_mad_u64_u32 v[21:22], s[10:11], s13, v26, v[21:22]
	v_add_co_u32_e32 v31, vcc, v49, v13
	v_mov_b32_e32 v25, v21
	v_addc_co_u32_e32 v32, vcc, v50, v14, vcc
	v_lshlrev_b64 v[13:14], 3, v[24:25]
	v_mov_b32_e32 v66, v36
	v_add_co_u32_e32 v43, vcc, v49, v13
	v_mov_b32_e32 v13, v34
	v_mad_u64_u32 v[34:35], s[10:11], s13, v41, v[13:14]
	v_add_u32_e32 v35, 0x46, v64
	v_mad_u64_u32 v[45:46], s[10:11], s12, v35, 0
	v_addc_co_u32_e32 v44, vcc, v50, v14, vcc
	global_load_dwordx2 v[23:24], v[27:28], off
	global_load_dwordx2 v[25:26], v[29:30], off
	;; [unrolled: 1-line block ×4, first 2 shown]
	v_mov_b32_e32 v29, v46
	v_mad_u64_u32 v[29:30], s[10:11], s13, v35, v[29:30]
	v_mad_u64_u32 v[30:31], s[10:11], s12, v42, 0
	v_mov_b32_e32 v46, v29
	v_lshlrev_b64 v[27:28], 3, v[33:34]
	v_mov_b32_e32 v29, v31
	v_mad_u64_u32 v[31:32], s[10:11], s13, v42, v[29:30]
	v_add_u32_e32 v34, 0x4b, v64
	v_mad_u64_u32 v[32:33], s[10:11], s12, v34, 0
	v_add_co_u32_e32 v43, vcc, v49, v27
	v_addc_co_u32_e32 v44, vcc, v50, v28, vcc
	v_lshlrev_b64 v[27:28], 3, v[45:46]
	v_mov_b32_e32 v29, v33
	v_add_co_u32_e32 v45, vcc, v49, v27
	v_addc_co_u32_e32 v46, vcc, v50, v28, vcc
	v_lshlrev_b64 v[27:28], 3, v[30:31]
	v_mad_u64_u32 v[29:30], s[10:11], s13, v34, v[29:30]
	v_add_co_u32_e32 v47, vcc, v49, v27
	v_mov_b32_e32 v33, v29
	v_addc_co_u32_e32 v48, vcc, v50, v28, vcc
	v_lshlrev_b64 v[27:28], 3, v[32:33]
	v_mov_b32_e32 v65, v37
	v_add_co_u32_e32 v49, vcc, v49, v27
	v_addc_co_u32_e32 v50, vcc, v50, v28, vcc
	global_load_dwordx2 v[29:30], v[43:44], off
	global_load_dwordx2 v[31:32], v[45:46], off
	;; [unrolled: 1-line block ×4, first 2 shown]
	v_mov_b32_e32 v35, v38
	v_mov_b32_e32 v43, v39
	;; [unrolled: 1-line block ×5, first 2 shown]
.LBB0_9:
	s_or_b64 exec, exec, s[2:3]
.LBB0_10:
	s_waitcnt vmcnt(14)
	v_sub_f32_e32 v42, v16, v20
	v_fma_f32 v47, v16, 2.0, -v42
	s_waitcnt vmcnt(6)
	v_sub_f32_e32 v16, v23, v25
	v_sub_f32_e32 v19, v15, v19
	v_fma_f32 v20, v23, 2.0, -v16
	s_waitcnt vmcnt(2)
	v_sub_f32_e32 v23, v29, v31
	s_waitcnt vmcnt(0)
	v_sub_f32_e32 v31, v27, v33
	v_mul_u32_u24_e32 v33, 0x198, v64
	v_lshlrev_b32_e32 v25, 2, v63
	v_fma_f32 v15, v15, 2.0, -v19
	v_add3_u32 v48, 0, v33, v25
	v_sub_f32_e32 v1, v3, v1
	ds_write2_b32 v48, v15, v19 offset1:51
	v_mul_i32_i24_e32 v15, 0x198, v66
	v_fma_f32 v3, v3, 2.0, -v1
	v_add3_u32 v49, 0, v15, v25
	v_mul_i32_i24_e32 v15, 0xcc, v66
	v_sub_f32_e32 v11, v9, v11
	v_sub_f32_e32 v5, v7, v5
	ds_write2_b32 v49, v3, v1 offset1:51
	v_mul_i32_i24_e32 v1, 0x198, v65
	v_mul_i32_i24_e32 v3, 0x198, v35
	v_add3_u32 v36, 0, v15, v25
	v_mul_i32_i24_e32 v15, 0xcc, v65
	v_fma_f32 v9, v9, 2.0, -v11
	v_fma_f32 v7, v7, 2.0, -v5
	v_add3_u32 v1, 0, v1, v25
	v_add3_u32 v3, 0, v3, v25
	;; [unrolled: 1-line block ×3, first 2 shown]
	v_mul_i32_i24_e32 v15, 0xcc, v35
	v_sub_f32_e32 v13, v21, v13
	ds_write2_b32 v1, v9, v11 offset1:51
	ds_write2_b32 v3, v7, v5 offset1:51
	v_mul_i32_i24_e32 v5, 0x198, v43
	v_mul_i32_i24_e32 v7, 0x198, v44
	;; [unrolled: 1-line block ×4, first 2 shown]
	v_add3_u32 v33, 0, v15, v25
	v_mul_i32_i24_e32 v15, 0xcc, v43
	v_fma_f32 v21, v21, 2.0, -v13
	v_fma_f32 v29, v29, 2.0, -v23
	;; [unrolled: 1-line block ×3, first 2 shown]
	v_add3_u32 v5, 0, v5, v25
	v_add3_u32 v7, 0, v7, v25
	;; [unrolled: 1-line block ×5, first 2 shown]
	v_mul_i32_i24_e32 v15, 0xcc, v44
	ds_write2_b32 v5, v20, v16 offset1:51
	ds_write2_b32 v7, v21, v13 offset1:51
	;; [unrolled: 1-line block ×4, first 2 shown]
	v_mul_u32_u24_e32 v13, 0xcc, v64
	v_add3_u32 v27, 0, v15, v25
	v_mul_i32_i24_e32 v15, 0xcc, v45
	v_sub_f32_e32 v2, v4, v2
	v_sub_f32_e32 v26, v24, v26
	v_add3_u32 v31, 0, v13, v25
	v_add3_u32 v29, 0, v15, v25
	v_mul_i32_i24_e32 v15, 0xcc, v46
	v_fma_f32 v4, v4, 2.0, -v2
	v_sub_f32_e32 v12, v10, v12
	v_sub_f32_e32 v6, v8, v6
	v_fma_f32 v24, v24, 2.0, -v26
	v_sub_f32_e32 v14, v22, v14
	v_sub_f32_e32 v32, v30, v32
	;; [unrolled: 1-line block ×3, first 2 shown]
	s_waitcnt lgkmcnt(0)
	s_barrier
	v_add_u32_e32 v13, 0x1fe0, v31
	v_add_u32_e32 v21, 0x27d8, v31
	;; [unrolled: 1-line block ×3, first 2 shown]
	v_add3_u32 v51, 0, v15, v25
	v_add_u32_e32 v52, 0x37c8, v31
	ds_read_b32 v53, v31
	ds_read_b32 v54, v36
	;; [unrolled: 1-line block ×8, first 2 shown]
	ds_read2_b32 v[15:16], v13 offset1:255
	ds_read2_b32 v[19:20], v21 offset1:255
	;; [unrolled: 1-line block ×4, first 2 shown]
	s_waitcnt lgkmcnt(0)
	s_barrier
	ds_write2_b32 v48, v47, v42 offset1:51
	v_fma_f32 v10, v10, 2.0, -v12
	v_fma_f32 v8, v8, 2.0, -v6
	;; [unrolled: 1-line block ×5, first 2 shown]
	ds_write2_b32 v49, v4, v2 offset1:51
	ds_write2_b32 v1, v10, v12 offset1:51
	;; [unrolled: 1-line block ×7, first 2 shown]
	v_and_b32_e32 v24, 1, v64
	v_lshlrev_b32_e32 v1, 3, v24
	v_and_b32_e32 v26, 1, v66
	s_waitcnt lgkmcnt(0)
	s_barrier
	global_load_dwordx2 v[1:2], v1, s[18:19]
	v_lshlrev_b32_e32 v3, 3, v26
	global_load_dwordx2 v[3:4], v3, s[18:19]
	v_and_b32_e32 v28, 1, v35
	v_lshlrev_b32_e32 v5, 3, v28
	global_load_dwordx2 v[5:6], v5, s[18:19]
	v_and_b32_e32 v30, 1, v44
	;; [unrolled: 3-line block ×3, first 2 shown]
	v_lshlrev_b32_e32 v9, 3, v32
	global_load_dwordx2 v[9:10], v9, s[18:19]
	ds_read2_b32 v[11:12], v13 offset1:255
	ds_read2_b32 v[13:14], v21 offset1:255
	;; [unrolled: 1-line block ×3, first 2 shown]
	s_movk_i32 s2, 0x1ffc
	v_and_b32_e32 v62, 3, v65
	v_and_b32_e32 v68, 3, v35
	v_lshlrev_b32_e32 v78, 2, v66
	v_lshlrev_b32_e32 v73, 2, v65
	v_add_u32_e32 v75, 0xcc0, v31
	v_add_u32_e32 v76, 0x1980, v31
	;; [unrolled: 1-line block ×4, first 2 shown]
	v_lshl_add_u32 v79, v63, 2, 0
                                        ; implicit-def: $vgpr72
	s_waitcnt vmcnt(4) lgkmcnt(2)
	v_mul_f32_e32 v23, v11, v2
	v_fma_f32 v23, v15, v1, -v23
	v_mul_f32_e32 v34, v15, v2
	s_waitcnt vmcnt(3)
	v_mul_f32_e32 v15, v12, v4
	v_fma_f32 v42, v16, v3, -v15
	v_mul_f32_e32 v4, v16, v4
	ds_read2_b32 v[15:16], v52 offset1:255
	v_fmac_f32_e32 v4, v12, v3
	s_waitcnt vmcnt(2) lgkmcnt(2)
	v_mul_f32_e32 v12, v14, v6
	v_mul_f32_e32 v6, v20, v6
	v_fmac_f32_e32 v34, v11, v1
	v_mul_f32_e32 v3, v13, v2
	v_mul_f32_e32 v11, v19, v2
	v_fma_f32 v12, v20, v5, -v12
	v_fmac_f32_e32 v6, v14, v5
	s_waitcnt vmcnt(1) lgkmcnt(1)
	v_mul_f32_e32 v5, v22, v8
	v_mul_f32_e32 v8, v39, v8
	v_fma_f32 v3, v19, v1, -v3
	v_fmac_f32_e32 v11, v13, v1
	v_fma_f32 v5, v39, v7, -v5
	v_fmac_f32_e32 v8, v22, v7
	ds_read_b32 v7, v31
	ds_read_b32 v13, v36
	;; [unrolled: 1-line block ×8, first 2 shown]
	v_mul_f32_e32 v39, v21, v2
	v_fma_f32 v39, v38, v1, -v39
	v_mul_f32_e32 v38, v38, v2
	v_fmac_f32_e32 v38, v21, v1
	s_waitcnt lgkmcnt(8)
	v_mul_f32_e32 v21, v15, v2
	v_mul_f32_e32 v2, v40, v2
	v_fma_f32 v21, v40, v1, -v21
	v_fmac_f32_e32 v2, v15, v1
	s_waitcnt vmcnt(0)
	v_mul_f32_e32 v1, v16, v10
	v_mul_f32_e32 v10, v41, v10
	v_fmac_f32_e32 v10, v16, v9
	s_waitcnt lgkmcnt(0)
	v_sub_f32_e32 v10, v29, v10
	v_fma_f32 v51, v29, 2.0, -v10
	v_lshlrev_b32_e32 v29, 1, v64
	v_and_or_b32 v29, v29, 12, v24
	v_fma_f32 v1, v41, v9, -v1
	v_sub_f32_e32 v9, v53, v23
	v_mul_u32_u24_e32 v29, 0xcc, v29
	v_fma_f32 v16, v53, 2.0, -v9
	v_add3_u32 v52, 0, v29, v25
	s_barrier
	ds_write2_b32 v52, v16, v9 offset1:102
	v_lshlrev_b32_e32 v9, 1, v66
	v_lshlrev_b32_e32 v16, 1, v65
	v_and_or_b32 v9, v9, s2, v26
	v_and_or_b32 v16, v16, s2, v24
	v_sub_f32_e32 v23, v54, v42
	v_sub_f32_e32 v4, v13, v4
	;; [unrolled: 1-line block ×3, first 2 shown]
	v_mul_u32_u24_e32 v9, 0xcc, v9
	v_mul_u32_u24_e32 v16, 0xcc, v16
	v_sub_f32_e32 v15, v7, v34
	v_fma_f32 v34, v54, 2.0, -v23
	v_fma_f32 v40, v13, 2.0, -v4
	v_fma_f32 v13, v55, 2.0, -v3
	v_add3_u32 v9, 0, v9, v25
	v_add3_u32 v16, 0, v16, v25
	ds_write2_b32 v9, v34, v23 offset1:102
	ds_write2_b32 v16, v13, v3 offset1:102
	v_lshlrev_b32_e32 v3, 1, v35
	v_and_or_b32 v3, v3, s2, v28
	v_sub_f32_e32 v11, v14, v11
	v_sub_f32_e32 v12, v56, v12
	v_mul_u32_u24_e32 v3, 0xcc, v3
	v_fma_f32 v41, v14, 2.0, -v11
	v_fma_f32 v14, v56, 2.0, -v12
	v_add3_u32 v3, 0, v3, v25
	ds_write2_b32 v3, v14, v12 offset1:102
	v_lshlrev_b32_e32 v12, 1, v43
	v_lshlrev_b32_e32 v13, 1, v44
	v_sub_f32_e32 v6, v19, v6
	v_and_or_b32 v12, v12, s2, v24
	v_and_or_b32 v13, v13, s2, v30
	v_fma_f32 v42, v19, 2.0, -v6
	v_sub_f32_e32 v19, v57, v39
	v_sub_f32_e32 v38, v20, v38
	;; [unrolled: 1-line block ×3, first 2 shown]
	v_mul_u32_u24_e32 v12, 0xcc, v12
	v_mul_u32_u24_e32 v13, 0xcc, v13
	v_fma_f32 v39, v57, 2.0, -v19
	v_fma_f32 v47, v20, 2.0, -v38
	;; [unrolled: 1-line block ×3, first 2 shown]
	v_add3_u32 v12, 0, v12, v25
	v_add3_u32 v26, 0, v13, v25
	ds_write2_b32 v12, v39, v19 offset1:102
	ds_write2_b32 v26, v20, v5 offset1:102
	v_lshlrev_b32_e32 v5, 1, v45
	v_lshlrev_b32_e32 v13, 1, v46
	v_and_or_b32 v5, v5, s2, v24
	v_and_or_b32 v13, v13, s2, v32
	v_sub_f32_e32 v8, v22, v8
	v_sub_f32_e32 v21, v59, v21
	;; [unrolled: 1-line block ×3, first 2 shown]
	v_mul_u32_u24_e32 v5, 0xcc, v5
	v_mul_u32_u24_e32 v13, 0xcc, v13
	v_fma_f32 v48, v22, 2.0, -v8
	v_fma_f32 v22, v59, 2.0, -v21
	;; [unrolled: 1-line block ×3, first 2 shown]
	v_add3_u32 v5, 0, v5, v25
	v_add3_u32 v28, 0, v13, v25
	v_and_b32_e32 v59, 3, v66
	v_fma_f32 v7, v7, 2.0, -v15
	v_sub_f32_e32 v2, v27, v2
	ds_write2_b32 v5, v22, v21 offset1:102
	ds_write2_b32 v28, v49, v1 offset1:102
	v_add_u32_e32 v49, 0x1be4, v31
	v_add_u32_e32 v46, 0x2bd4, v31
	;; [unrolled: 1-line block ×5, first 2 shown]
	v_mul_u32_u24_e32 v1, 3, v59
	v_fma_f32 v27, v27, 2.0, -v2
	s_waitcnt lgkmcnt(0)
	s_barrier
	ds_read_b32 v34, v31
	ds_read2_b32 v[21:22], v49 offset1:255
	ds_read2_b32 v[19:20], v46 offset1:255
	;; [unrolled: 1-line block ×5, first 2 shown]
	ds_read_b32 v55, v50
	ds_read_b32 v67, v33
	;; [unrolled: 1-line block ×4, first 2 shown]
	ds_read_b32 v58, v31 offset:15300
	s_waitcnt lgkmcnt(0)
	s_barrier
	ds_write2_b32 v52, v7, v15 offset1:102
	ds_write2_b32 v9, v40, v4 offset1:102
	;; [unrolled: 1-line block ×8, first 2 shown]
	v_lshlrev_b32_e32 v28, 3, v1
	v_mul_u32_u24_e32 v1, 3, v62
	s_waitcnt lgkmcnt(0)
	s_barrier
	global_load_dwordx2 v[15:16], v28, s[18:19] offset:32
	v_lshlrev_b32_e32 v42, 3, v1
	global_load_dwordx2 v[26:27], v42, s[18:19] offset:32
	v_mul_u32_u24_e32 v1, 3, v68
	v_lshlrev_b32_e32 v44, 3, v1
	global_load_dwordx2 v[38:39], v44, s[18:19] offset:32
	v_and_b32_e32 v1, 3, v64
	v_mul_u32_u24_e32 v1, 3, v1
	v_lshlrev_b32_e32 v43, 3, v1
	global_load_dwordx2 v[40:41], v43, s[18:19] offset:32
	global_load_dwordx4 v[1:4], v28, s[18:19] offset:16
	global_load_dwordx4 v[5:8], v42, s[18:19] offset:16
	;; [unrolled: 1-line block ×3, first 2 shown]
	ds_read2_b32 v[42:43], v32 offset1:255
	ds_read_b32 v47, v31 offset:15300
	s_movk_i32 s2, 0x3ff0
	s_waitcnt vmcnt(6) lgkmcnt(1)
	v_mul_f32_e32 v28, v42, v16
	v_fma_f32 v60, v13, v15, -v28
	v_mul_f32_e32 v61, v13, v16
	s_waitcnt vmcnt(5)
	v_mul_f32_e32 v13, v43, v27
	v_fmac_f32_e32 v61, v42, v15
	v_fma_f32 v42, v14, v26, -v13
	v_mul_f32_e32 v69, v14, v27
	global_load_dwordx4 v[13:16], v44, s[18:19] offset:16
	v_fmac_f32_e32 v69, v43, v26
	ds_read_b32 v32, v33
	ds_read_b32 v26, v50
	;; [unrolled: 1-line block ×5, first 2 shown]
	ds_read2_b32 v[27:28], v46 offset1:255
	s_waitcnt vmcnt(5) lgkmcnt(6)
	v_mul_f32_e32 v48, v47, v39
	v_mul_f32_e32 v71, v58, v39
	v_fma_f32 v70, v58, v38, -v48
	v_fmac_f32_e32 v71, v47, v38
	ds_read2_b32 v[38:39], v53 offset1:255
	s_waitcnt vmcnt(4) lgkmcnt(1)
	v_mul_f32_e32 v46, v28, v41
	v_fma_f32 v47, v20, v40, -v46
	v_mul_f32_e32 v20, v20, v41
	v_fmac_f32_e32 v20, v28, v40
	s_waitcnt vmcnt(3) lgkmcnt(0)
	v_mul_f32_e32 v28, v38, v2
	v_mul_f32_e32 v46, v29, v2
	v_fma_f32 v40, v29, v1, -v28
	v_fmac_f32_e32 v46, v38, v1
	ds_read2_b32 v[1:2], v49 offset1:255
	s_waitcnt vmcnt(2)
	v_mul_f32_e32 v28, v39, v6
	v_fma_f32 v41, v30, v5, -v28
	v_mul_f32_e32 v28, v30, v6
	v_fmac_f32_e32 v28, v39, v5
	s_waitcnt vmcnt(1)
	v_mul_f32_e32 v5, v26, v10
	v_mul_f32_e32 v48, v55, v10
	s_waitcnt lgkmcnt(0)
	v_mul_f32_e32 v6, v2, v12
	v_fma_f32 v5, v55, v9, -v5
	v_fmac_f32_e32 v48, v26, v9
	v_fma_f32 v6, v22, v11, -v6
	v_sub_f32_e32 v6, v34, v6
	v_sub_f32_e32 v49, v5, v47
	;; [unrolled: 1-line block ×3, first 2 shown]
	v_fma_f32 v9, v34, 2.0, -v6
	v_fma_f32 v5, v5, 2.0, -v49
	v_sub_f32_e32 v20, v6, v50
	v_sub_f32_e32 v10, v9, v5
	v_fma_f32 v26, v6, 2.0, -v20
	ds_read2_b32 v[5:6], v54 offset1:255
	v_lshlrev_b32_e32 v47, 2, v64
	v_or_b32_e32 v29, v47, v64
	v_and_b32_e32 v29, 19, v29
	v_mul_u32_u24_e32 v29, 0xcc, v29
	v_fma_f32 v9, v9, 2.0, -v10
	v_add3_u32 v51, 0, v29, v25
	s_waitcnt vmcnt(0) lgkmcnt(0)
	s_barrier
	ds_write2_b32 v51, v9, v26 offset1:204
	v_mul_f32_e32 v9, v5, v4
	v_fma_f32 v9, v23, v3, -v9
	v_add_u32_e32 v52, 0x600, v51
	v_sub_f32_e32 v9, v56, v9
	v_sub_f32_e32 v55, v40, v60
	ds_write2_b32 v52, v10, v20 offset0:24 offset1:228
	v_fma_f32 v10, v56, 2.0, -v9
	v_sub_f32_e32 v56, v46, v61
	v_fma_f32 v20, v40, 2.0, -v55
	v_and_or_b32 v29, v78, s2, v59
	v_sub_f32_e32 v20, v10, v20
	v_sub_f32_e32 v26, v9, v56
	v_mul_u32_u24_e32 v29, 0xcc, v29
	v_fma_f32 v10, v10, 2.0, -v20
	v_fma_f32 v9, v9, 2.0, -v26
	v_add3_u32 v53, 0, v29, v25
	ds_write2_b32 v53, v10, v9 offset1:204
	v_mul_f32_e32 v9, v6, v8
	v_fma_f32 v9, v24, v7, -v9
	v_add_u32_e32 v54, 0x600, v53
	v_sub_f32_e32 v9, v57, v9
	v_sub_f32_e32 v60, v41, v42
	ds_write2_b32 v54, v20, v26 offset0:24 offset1:228
	v_fma_f32 v10, v57, 2.0, -v9
	v_sub_f32_e32 v61, v28, v69
	v_fma_f32 v20, v41, 2.0, -v60
	v_and_or_b32 v29, v73, s2, v62
	v_sub_f32_e32 v20, v10, v20
	v_sub_f32_e32 v26, v9, v61
	v_mul_u32_u24_e32 v29, 0xcc, v29
	v_fma_f32 v10, v10, 2.0, -v20
	v_fma_f32 v9, v9, 2.0, -v26
	v_add3_u32 v57, 0, v29, v25
	v_lshlrev_b32_e32 v30, 2, v35
	ds_write2_b32 v57, v10, v9 offset1:204
	v_and_or_b32 v9, v30, s2, v68
	v_mul_u32_u24_e32 v9, 0xcc, v9
	v_mul_f32_e32 v62, v21, v14
	v_add3_u32 v59, 0, v9, v25
	v_mul_f32_e32 v9, v1, v14
	v_fmac_f32_e32 v62, v1, v13
	v_mul_f32_e32 v1, v27, v16
	v_fma_f32 v9, v21, v13, -v9
	v_fma_f32 v1, v19, v15, -v1
	v_sub_f32_e32 v1, v67, v1
	v_sub_f32_e32 v68, v9, v70
	v_fma_f32 v10, v67, 2.0, -v1
	v_sub_f32_e32 v74, v62, v71
	v_fma_f32 v9, v9, 2.0, -v68
	v_sub_f32_e32 v9, v10, v9
	v_sub_f32_e32 v67, v1, v74
	v_add_u32_e32 v58, 0x600, v57
	v_fma_f32 v10, v10, 2.0, -v9
	v_fma_f32 v1, v1, 2.0, -v67
	ds_write2_b32 v58, v20, v26 offset0:24 offset1:228
	ds_write2_b32 v59, v10, v1 offset1:204
	v_add_u32_e32 v1, 0x600, v59
	ds_write2_b32 v1, v9, v67 offset0:24 offset1:228
	s_waitcnt lgkmcnt(0)
	s_barrier
	ds_read_b32 v29, v31
	ds_read_b32 v40, v31 offset:5304
	ds_read_b32 v38, v31 offset:8568
	;; [unrolled: 1-line block ×3, first 2 shown]
	ds_read_b32 v41, v37
	ds_read_b32 v42, v36
	ds_read_b32 v39, v31 offset:15096
	ds_read2_b32 v[25:26], v75 offset1:255
	ds_read2_b32 v[20:21], v76 offset1:255
	;; [unrolled: 1-line block ×4, first 2 shown]
	v_cmp_gt_u32_e64 s[2:3], 51, v0
                                        ; implicit-def: $vgpr69
                                        ; implicit-def: $vgpr70
                                        ; implicit-def: $vgpr71
	s_and_saveexec_b64 s[10:11], s[2:3]
	s_cbranch_execz .LBB0_12
; %bb.11:
	ds_read_b32 v67, v33
	ds_read_b32 v72, v79 offset:6324
	ds_read_b32 v71, v79 offset:9588
	;; [unrolled: 1-line block ×4, first 2 shown]
.LBB0_12:
	s_or_b64 exec, exec, s[10:11]
	v_mul_f32_e32 v12, v22, v12
	v_fmac_f32_e32 v12, v2, v11
	v_mul_f32_e32 v2, v23, v4
	v_fmac_f32_e32 v2, v5, v3
	v_mul_f32_e32 v3, v24, v8
	v_mul_f32_e32 v4, v19, v16
	v_fmac_f32_e32 v3, v6, v7
	v_fmac_f32_e32 v4, v27, v15
	v_sub_f32_e32 v5, v45, v12
	v_sub_f32_e32 v2, v44, v2
	;; [unrolled: 1-line block ×4, first 2 shown]
	v_fma_f32 v6, v45, 2.0, -v5
	v_fma_f32 v7, v48, 2.0, -v50
	;; [unrolled: 1-line block ×8, first 2 shown]
	v_sub_f32_e32 v7, v6, v7
	v_add_f32_e32 v8, v5, v49
	v_sub_f32_e32 v12, v11, v12
	v_sub_f32_e32 v19, v16, v19
	;; [unrolled: 1-line block ×3, first 2 shown]
	v_fma_f32 v6, v6, 2.0, -v7
	v_fma_f32 v5, v5, 2.0, -v8
	;; [unrolled: 1-line block ×3, first 2 shown]
	v_add_f32_e32 v15, v2, v55
	v_fma_f32 v16, v16, 2.0, -v19
	v_add_f32_e32 v22, v3, v60
	v_fma_f32 v23, v23, 2.0, -v24
	v_add_f32_e32 v68, v4, v68
	v_fma_f32 v2, v2, 2.0, -v15
	v_fma_f32 v3, v3, 2.0, -v22
	v_fma_f32 v4, v4, 2.0, -v68
	s_waitcnt lgkmcnt(0)
	s_barrier
	ds_write2_b32 v51, v6, v5 offset1:204
	ds_write2_b32 v52, v7, v8 offset0:24 offset1:228
	ds_write2_b32 v53, v11, v2 offset1:204
	ds_write2_b32 v54, v12, v15 offset0:24 offset1:228
	;; [unrolled: 2-line block ×4, first 2 shown]
	s_waitcnt lgkmcnt(0)
	s_barrier
	ds_read2_b32 v[27:28], v75 offset1:255
	ds_read2_b32 v[22:23], v76 offset1:255
	ds_read2_b32 v[15:16], v77 offset1:255
	ds_read2_b32 v[11:12], v80 offset1:255
	ds_read_b32 v43, v37
	ds_read_b32 v24, v31
	ds_read_b32 v46, v31 offset:5304
	ds_read_b32 v45, v31 offset:8568
	;; [unrolled: 1-line block ×3, first 2 shown]
	ds_read_b32 v44, v36
	ds_read_b32 v36, v31 offset:15096
                                        ; implicit-def: $vgpr74
                                        ; implicit-def: $vgpr75
                                        ; implicit-def: $vgpr76
                                        ; implicit-def: $vgpr77
	s_and_saveexec_b64 s[10:11], s[2:3]
	s_cbranch_execz .LBB0_14
; %bb.13:
	ds_read_b32 v68, v33
	ds_read_b32 v77, v79 offset:6324
	ds_read_b32 v76, v79 offset:9588
	;; [unrolled: 1-line block ×4, first 2 shown]
.LBB0_14:
	s_or_b64 exec, exec, s[10:11]
	v_and_b32_e32 v1, 28, v47
	v_lshlrev_b32_e32 v1, 3, v1
	global_load_dwordx4 v[47:50], v1, s[18:19] offset:112
	global_load_dwordx4 v[51:54], v1, s[18:19] offset:128
	v_and_b32_e32 v1, 60, v78
	v_lshlrev_b32_e32 v1, 3, v1
	global_load_dwordx4 v[55:58], v1, s[18:19] offset:112
	global_load_dwordx4 v[59:62], v1, s[18:19] offset:128
	;; [unrolled: 4-line block ×4, first 2 shown]
	s_load_dwordx2 s[4:5], s[4:5], 0x8
	s_andn2_b64 vcc, exec, s[0:1]
	s_waitcnt vmcnt(7) lgkmcnt(0)
	v_mul_f32_e32 v33, v27, v48
	v_mul_f32_e32 v48, v25, v48
	;; [unrolled: 1-line block ×3, first 2 shown]
	s_waitcnt vmcnt(6)
	v_mul_f32_e32 v88, v15, v52
	v_mul_f32_e32 v52, v13, v52
	;; [unrolled: 1-line block ×4, first 2 shown]
	s_waitcnt vmcnt(5)
	v_mul_f32_e32 v91, v23, v58
	v_mul_f32_e32 v58, v21, v58
	s_waitcnt vmcnt(4)
	v_mul_f32_e32 v92, v16, v60
	v_mul_f32_e32 v93, v12, v62
	v_fma_f32 v25, v25, v47, -v33
	v_fmac_f32_e32 v48, v27, v47
	v_fma_f32 v27, v20, v49, -v87
	v_fma_f32 v33, v13, v51, -v88
	v_fmac_f32_e32 v52, v15, v51
	v_fma_f32 v15, v9, v53, -v89
	v_mul_f32_e32 v50, v20, v50
	v_mul_f32_e32 v60, v14, v60
	;; [unrolled: 1-line block ×3, first 2 shown]
	s_waitcnt vmcnt(2)
	v_mul_f32_e32 v31, v34, v84
	v_fmac_f32_e32 v54, v11, v53
	v_fmac_f32_e32 v58, v23, v57
	v_fma_f32 v51, v14, v59, -v92
	v_fma_f32 v53, v10, v61, -v93
	v_add_f32_e32 v10, v29, v25
	v_add_f32_e32 v14, v27, v33
	;; [unrolled: 1-line block ×3, first 2 shown]
	v_mul_f32_e32 v94, v46, v80
	v_mul_f32_e32 v19, v40, v80
	;; [unrolled: 1-line block ×5, first 2 shown]
	v_fmac_f32_e32 v50, v22, v49
	v_fmac_f32_e32 v31, v37, v83
	v_add_f32_e32 v37, v10, v27
	v_fma_f32 v10, -0.5, v14, v29
	v_fmac_f32_e32 v29, -0.5, v23
	v_mul_f32_e32 v90, v28, v56
	v_mul_f32_e32 v56, v26, v56
	v_fmac_f32_e32 v60, v16, v59
	v_sub_f32_e32 v22, v50, v52
	v_sub_f32_e32 v16, v25, v27
	;; [unrolled: 1-line block ×3, first 2 shown]
	v_mov_b32_e32 v14, v29
	v_fmac_f32_e32 v56, v28, v55
	v_fma_f32 v28, v21, v57, -v91
	v_fma_f32 v9, v38, v81, -v80
	v_sub_f32_e32 v21, v48, v54
	v_add_f32_e32 v38, v16, v20
	v_mov_b32_e32 v20, v10
	v_fmac_f32_e32 v14, 0xbf737871, v22
	v_fmac_f32_e32 v29, 0x3f737871, v22
	v_mul_f32_e32 v32, v39, v86
	v_fmac_f32_e32 v10, 0xbf737871, v21
	v_fmac_f32_e32 v20, 0x3f737871, v21
	v_fmac_f32_e32 v14, 0x3f167918, v21
	v_fmac_f32_e32 v29, 0xbf167918, v21
	v_add_f32_e32 v21, v24, v48
	v_mul_f32_e32 v84, v36, v86
	v_fmac_f32_e32 v62, v12, v61
	v_fma_f32 v12, v34, v83, -v82
	v_fmac_f32_e32 v32, v36, v85
	v_sub_f32_e32 v34, v27, v25
	v_sub_f32_e32 v36, v33, v15
	v_add_f32_e32 v21, v21, v50
	v_add_f32_e32 v23, v34, v36
	;; [unrolled: 1-line block ×3, first 2 shown]
	v_fmac_f32_e32 v14, 0x3e9e377a, v23
	v_fmac_f32_e32 v29, 0x3e9e377a, v23
	v_add_f32_e32 v23, v21, v54
	v_add_f32_e32 v21, v50, v52
	;; [unrolled: 1-line block ×3, first 2 shown]
	v_fma_f32 v21, -0.5, v21, v24
	v_add_f32_e32 v16, v16, v15
	v_fmac_f32_e32 v10, 0xbf167918, v22
	v_fmac_f32_e32 v20, 0x3f167918, v22
	v_sub_f32_e32 v15, v25, v15
	v_mov_b32_e32 v22, v21
	v_fmac_f32_e32 v22, 0xbf737871, v15
	v_sub_f32_e32 v27, v27, v33
	v_sub_f32_e32 v25, v48, v50
	;; [unrolled: 1-line block ×3, first 2 shown]
	v_fmac_f32_e32 v21, 0x3f737871, v15
	v_fmac_f32_e32 v22, 0xbf167918, v27
	v_add_f32_e32 v25, v25, v33
	v_fmac_f32_e32 v21, 0x3f167918, v27
	v_fmac_f32_e32 v22, 0x3e9e377a, v25
	;; [unrolled: 1-line block ×3, first 2 shown]
	v_add_f32_e32 v25, v48, v54
	v_fmac_f32_e32 v24, -0.5, v25
	v_mov_b32_e32 v25, v24
	v_fma_f32 v26, v26, v55, -v90
	v_fmac_f32_e32 v25, 0x3f737871, v27
	v_fmac_f32_e32 v24, 0xbf737871, v27
	;; [unrolled: 1-line block ×4, first 2 shown]
	v_add_f32_e32 v15, v42, v26
	v_add_f32_e32 v15, v15, v28
	;; [unrolled: 1-line block ×5, first 2 shown]
	v_fmac_f32_e32 v30, v45, v81
	v_sub_f32_e32 v33, v50, v48
	v_sub_f32_e32 v34, v52, v54
	v_fma_f32 v45, -0.5, v15, v42
	v_fmac_f32_e32 v19, v46, v79
	v_add_f32_e32 v33, v33, v34
	v_sub_f32_e32 v15, v56, v62
	v_mov_b32_e32 v46, v45
	v_fmac_f32_e32 v25, 0x3e9e377a, v33
	v_fmac_f32_e32 v24, 0x3e9e377a, v33
	;; [unrolled: 1-line block ×3, first 2 shown]
	v_sub_f32_e32 v27, v58, v60
	v_sub_f32_e32 v33, v26, v28
	;; [unrolled: 1-line block ×3, first 2 shown]
	v_fmac_f32_e32 v45, 0xbf737871, v15
	v_fmac_f32_e32 v46, 0x3f167918, v27
	v_add_f32_e32 v33, v33, v34
	v_fmac_f32_e32 v45, 0xbf167918, v27
	v_fmac_f32_e32 v46, 0x3e9e377a, v33
	;; [unrolled: 1-line block ×3, first 2 shown]
	v_add_f32_e32 v33, v26, v53
	v_fmac_f32_e32 v42, -0.5, v33
	v_mov_b32_e32 v48, v42
	v_fmac_f32_e32 v48, 0xbf737871, v27
	v_fmac_f32_e32 v42, 0x3f737871, v27
	;; [unrolled: 1-line block ×4, first 2 shown]
	v_add_f32_e32 v15, v44, v56
	v_add_f32_e32 v15, v15, v58
	;; [unrolled: 1-line block ×5, first 2 shown]
	v_fma_f32 v49, -0.5, v15, v44
	v_sub_f32_e32 v15, v26, v53
	v_mov_b32_e32 v50, v49
	v_sub_f32_e32 v33, v28, v26
	v_fmac_f32_e32 v50, 0xbf737871, v15
	v_sub_f32_e32 v26, v28, v51
	v_sub_f32_e32 v27, v56, v58
	;; [unrolled: 1-line block ×3, first 2 shown]
	v_fmac_f32_e32 v49, 0x3f737871, v15
	v_fmac_f32_e32 v50, 0xbf167918, v26
	v_add_f32_e32 v27, v27, v28
	v_fmac_f32_e32 v49, 0x3f167918, v26
	v_fmac_f32_e32 v50, 0x3e9e377a, v27
	;; [unrolled: 1-line block ×3, first 2 shown]
	v_add_f32_e32 v27, v56, v62
	v_sub_f32_e32 v34, v51, v53
	v_fmac_f32_e32 v44, -0.5, v27
	v_add_f32_e32 v33, v33, v34
	v_mov_b32_e32 v53, v44
	v_fmac_f32_e32 v48, 0x3e9e377a, v33
	v_fmac_f32_e32 v42, 0x3e9e377a, v33
	v_fmac_f32_e32 v53, 0x3f737871, v26
	v_fmac_f32_e32 v44, 0xbf737871, v26
	v_mul_lo_u32 v26, v17, v64
	v_or_b32_e32 v33, 16, v64
	v_fmac_f32_e32 v10, 0x3e9e377a, v38
	v_fmac_f32_e32 v20, 0x3e9e377a, v38
	v_sub_f32_e32 v27, v58, v56
	v_sub_f32_e32 v28, v60, v62
	v_mul_lo_u32 v38, v17, v33
	v_fmac_f32_e32 v53, 0xbf167918, v15
	v_add_f32_e32 v27, v27, v28
	v_fmac_f32_e32 v44, 0x3f167918, v15
	v_fmac_f32_e32 v53, 0x3e9e377a, v27
	;; [unrolled: 1-line block ×3, first 2 shown]
	v_mov_b32_e32 v27, 3
	v_lshlrev_b32_sdwa v28, v27, v26 dst_sel:DWORD dst_unused:UNUSED_PAD src0_sel:DWORD src1_sel:BYTE_0
	v_fma_f32 v11, v40, v79, -v94
	v_lshlrev_b32_sdwa v26, v27, v26 dst_sel:DWORD dst_unused:UNUSED_PAD src0_sel:DWORD src1_sel:BYTE_1
	global_load_dwordx2 v[33:34], v28, s[4:5]
	global_load_dwordx2 v[36:37], v26, s[4:5] offset:2048
	v_lshlrev_b32_sdwa v28, v27, v38 dst_sel:DWORD dst_unused:UNUSED_PAD src0_sel:DWORD src1_sel:BYTE_0
	v_lshlrev_b32_sdwa v40, v27, v38 dst_sel:DWORD dst_unused:UNUSED_PAD src0_sel:DWORD src1_sel:BYTE_1
	v_or_b32_e32 v38, 32, v64
	v_mul_lo_u32 v56, v17, v38
	v_fma_f32 v13, v39, v85, -v84
	v_add_f32_e32 v15, v41, v11
	v_add_f32_e32 v15, v15, v9
	v_lshlrev_b32_sdwa v60, v27, v56 dst_sel:DWORD dst_unused:UNUSED_PAD src0_sel:DWORD src1_sel:BYTE_0
	v_lshlrev_b32_sdwa v61, v27, v56 dst_sel:DWORD dst_unused:UNUSED_PAD src0_sel:DWORD src1_sel:BYTE_1
	v_or_b32_e32 v56, 48, v64
	v_mul_lo_u32 v62, v17, v56
	global_load_dwordx2 v[38:39], v28, s[4:5]
	global_load_dwordx2 v[54:55], v40, s[4:5] offset:2048
	v_sub_f32_e32 v28, v11, v9
	v_sub_f32_e32 v40, v13, v12
	v_add_f32_e32 v15, v15, v12
	v_add_f32_e32 v28, v28, v40
	v_lshlrev_b32_sdwa v40, v27, v62 dst_sel:DWORD dst_unused:UNUSED_PAD src0_sel:DWORD src1_sel:BYTE_0
	v_add_f32_e32 v51, v15, v13
	v_add_f32_e32 v15, v9, v12
	global_load_dwordx2 v[56:57], v60, s[4:5]
	global_load_dwordx2 v[58:59], v61, s[4:5] offset:2048
	v_lshlrev_b32_sdwa v62, v27, v62 dst_sel:DWORD dst_unused:UNUSED_PAD src0_sel:DWORD src1_sel:BYTE_1
	global_load_dwordx2 v[60:61], v40, s[4:5]
	global_load_dwordx2 v[86:87], v62, s[4:5] offset:2048
	v_or_b32_e32 v40, 64, v64
	v_fma_f32 v79, -0.5, v15, v41
	v_mul_lo_u32 v40, v17, v40
	v_sub_f32_e32 v15, v19, v32
	v_mov_b32_e32 v80, v79
	v_fmac_f32_e32 v80, 0x3f737871, v15
	v_sub_f32_e32 v26, v30, v31
	v_fmac_f32_e32 v79, 0xbf737871, v15
	v_fmac_f32_e32 v80, 0x3f167918, v26
	;; [unrolled: 1-line block ×5, first 2 shown]
	v_lshlrev_b32_sdwa v28, v27, v40 dst_sel:DWORD dst_unused:UNUSED_PAD src0_sel:DWORD src1_sel:BYTE_0
	v_and_b32_e32 v62, 15, v66
	v_lshlrev_b32_sdwa v40, v27, v40 dst_sel:DWORD dst_unused:UNUSED_PAD src0_sel:DWORD src1_sel:BYTE_1
	global_load_dwordx2 v[88:89], v28, s[4:5]
	global_load_dwordx2 v[90:91], v40, s[4:5] offset:2048
	v_mul_lo_u32 v28, v17, v62
	v_add_f32_e32 v40, v11, v13
	v_fmac_f32_e32 v41, -0.5, v40
	v_mov_b32_e32 v82, v41
	v_lshlrev_b32_sdwa v40, v27, v28 dst_sel:DWORD dst_unused:UNUSED_PAD src0_sel:DWORD src1_sel:BYTE_0
	v_lshlrev_b32_sdwa v28, v27, v28 dst_sel:DWORD dst_unused:UNUSED_PAD src0_sel:DWORD src1_sel:BYTE_1
	global_load_dwordx2 v[92:93], v40, s[4:5]
	global_load_dwordx2 v[94:95], v28, s[4:5] offset:2048
	v_fmac_f32_e32 v82, 0xbf737871, v26
	v_fmac_f32_e32 v41, 0x3f737871, v26
	;; [unrolled: 1-line block ×4, first 2 shown]
	v_add_f32_e32 v15, v43, v19
	v_add_f32_e32 v15, v15, v30
	;; [unrolled: 1-line block ×5, first 2 shown]
	v_fma_f32 v81, -0.5, v15, v43
	v_sub_f32_e32 v28, v9, v11
	v_sub_f32_e32 v11, v11, v13
	v_mov_b32_e32 v83, v81
	v_sub_f32_e32 v40, v12, v13
	v_fmac_f32_e32 v83, 0xbf737871, v11
	v_sub_f32_e32 v9, v9, v12
	v_sub_f32_e32 v12, v19, v30
	;; [unrolled: 1-line block ×3, first 2 shown]
	v_fmac_f32_e32 v81, 0x3f737871, v11
	v_fmac_f32_e32 v83, 0xbf167918, v9
	v_add_f32_e32 v12, v12, v13
	v_fmac_f32_e32 v81, 0x3f167918, v9
	v_fmac_f32_e32 v83, 0x3e9e377a, v12
	v_fmac_f32_e32 v81, 0x3e9e377a, v12
	v_add_f32_e32 v12, v19, v32
	v_fmac_f32_e32 v43, -0.5, v12
	v_mov_b32_e32 v85, v43
	v_fmac_f32_e32 v85, 0x3f737871, v9
	v_fmac_f32_e32 v43, 0xbf737871, v9
	;; [unrolled: 1-line block ×3, first 2 shown]
	v_sub_f32_e32 v12, v30, v19
	v_sub_f32_e32 v13, v31, v32
	v_fmac_f32_e32 v43, 0x3f167918, v11
	v_add_f32_e32 v12, v12, v13
	s_waitcnt vmcnt(10)
	v_mul_f32_e32 v11, v33, v37
	v_mul_f32_e32 v9, v34, v37
	v_fmac_f32_e32 v11, v34, v36
	v_fmac_f32_e32 v85, 0x3e9e377a, v12
	v_fmac_f32_e32 v43, 0x3e9e377a, v12
	v_fma_f32 v9, v33, v36, -v9
	v_mul_f32_e32 v12, v23, v11
	v_fma_f32 v15, v16, v9, -v12
	v_mul_f32_e32 v16, v16, v11
	v_fmac_f32_e32 v16, v23, v9
	v_add_f32_e32 v28, v28, v40
	v_fmac_f32_e32 v82, 0x3e9e377a, v28
	s_waitcnt vmcnt(8)
	v_mul_f32_e32 v11, v38, v55
	v_mul_f32_e32 v9, v39, v55
	v_fmac_f32_e32 v11, v39, v54
	v_fma_f32 v9, v38, v54, -v9
	v_mul_f32_e32 v12, v22, v11
	v_fma_f32 v19, v20, v9, -v12
	v_mul_f32_e32 v20, v20, v11
	v_fmac_f32_e32 v20, v22, v9
	s_waitcnt vmcnt(6)
	v_mul_f32_e32 v12, v56, v59
	v_mul_f32_e32 v9, v57, v59
	v_fmac_f32_e32 v12, v57, v58
	v_fma_f32 v9, v56, v58, -v9
	v_mul_f32_e32 v11, v25, v12
	v_fma_f32 v11, v14, v9, -v11
	v_mul_f32_e32 v12, v14, v12
	s_waitcnt vmcnt(4)
	v_mul_f32_e32 v14, v60, v87
	v_fmac_f32_e32 v12, v25, v9
	v_mul_f32_e32 v9, v61, v87
	v_fmac_f32_e32 v14, v61, v86
	v_fma_f32 v9, v60, v86, -v9
	v_mul_f32_e32 v13, v24, v14
	v_mul_f32_e32 v14, v29, v14
	v_fma_f32 v13, v29, v9, -v13
	v_fmac_f32_e32 v14, v24, v9
	v_and_b32_e32 v25, 15, v65
	v_mul_lo_u32 v26, v17, v25
	s_waitcnt vmcnt(2)
	v_mul_f32_e32 v23, v88, v91
	v_mul_f32_e32 v9, v89, v91
	v_fmac_f32_e32 v23, v89, v90
	v_fma_f32 v22, v88, v90, -v9
	v_mul_f32_e32 v9, v21, v23
	v_fma_f32 v9, v10, v22, -v9
	v_mul_f32_e32 v10, v10, v23
	v_fmac_f32_e32 v10, v21, v22
	s_waitcnt vmcnt(0)
	v_mul_f32_e32 v21, v93, v95
	v_fma_f32 v58, v92, v94, -v21
	v_or_b32_e32 v21, 16, v62
	v_mul_lo_u32 v21, v17, v21
	v_or_b32_e32 v22, 32, v62
	v_mul_lo_u32 v22, v17, v22
	v_fmac_f32_e32 v41, 0x3e9e377a, v28
	v_lshlrev_b32_sdwa v23, v27, v21 dst_sel:DWORD dst_unused:UNUSED_PAD src0_sel:DWORD src1_sel:BYTE_0
	v_lshlrev_b32_sdwa v21, v27, v21 dst_sel:DWORD dst_unused:UNUSED_PAD src0_sel:DWORD src1_sel:BYTE_1
	v_lshlrev_b32_sdwa v24, v27, v22 dst_sel:DWORD dst_unused:UNUSED_PAD src0_sel:DWORD src1_sel:BYTE_0
	global_load_dwordx2 v[54:55], v23, s[4:5]
	global_load_dwordx2 v[56:57], v21, s[4:5] offset:2048
	v_lshlrev_b32_sdwa v21, v27, v22 dst_sel:DWORD dst_unused:UNUSED_PAD src0_sel:DWORD src1_sel:BYTE_1
	v_or_b32_e32 v22, 48, v62
	v_or_b32_e32 v23, 64, v62
	v_mul_lo_u32 v22, v17, v22
	v_mul_lo_u32 v23, v17, v23
	global_load_dwordx2 v[59:60], v24, s[4:5]
	global_load_dwordx2 v[86:87], v21, s[4:5] offset:2048
	v_mul_f32_e32 v116, v92, v95
	v_lshlrev_b32_sdwa v21, v27, v22 dst_sel:DWORD dst_unused:UNUSED_PAD src0_sel:DWORD src1_sel:BYTE_0
	v_lshlrev_b32_sdwa v22, v27, v22 dst_sel:DWORD dst_unused:UNUSED_PAD src0_sel:DWORD src1_sel:BYTE_1
	v_lshlrev_b32_sdwa v24, v27, v23 dst_sel:DWORD dst_unused:UNUSED_PAD src0_sel:DWORD src1_sel:BYTE_0
	v_lshlrev_b32_sdwa v23, v27, v23 dst_sel:DWORD dst_unused:UNUSED_PAD src0_sel:DWORD src1_sel:BYTE_1
	v_or_b32_e32 v28, 16, v25
	v_fmac_f32_e32 v116, v93, v94
	global_load_dwordx2 v[88:89], v21, s[4:5]
	global_load_dwordx2 v[90:91], v22, s[4:5] offset:2048
	v_mul_lo_u32 v21, v17, v28
	global_load_dwordx2 v[92:93], v24, s[4:5]
	global_load_dwordx2 v[94:95], v23, s[4:5] offset:2048
	v_lshlrev_b32_sdwa v22, v27, v26 dst_sel:DWORD dst_unused:UNUSED_PAD src0_sel:DWORD src1_sel:BYTE_0
	v_lshlrev_b32_sdwa v23, v27, v26 dst_sel:DWORD dst_unused:UNUSED_PAD src0_sel:DWORD src1_sel:BYTE_1
	v_or_b32_e32 v26, 32, v25
	v_mul_lo_u32 v26, v17, v26
	v_or_b32_e32 v28, 48, v25
	v_mul_lo_u32 v28, v17, v28
	v_lshlrev_b32_sdwa v24, v27, v21 dst_sel:DWORD dst_unused:UNUSED_PAD src0_sel:DWORD src1_sel:BYTE_0
	v_lshlrev_b32_sdwa v21, v27, v21 dst_sel:DWORD dst_unused:UNUSED_PAD src0_sel:DWORD src1_sel:BYTE_1
	v_or_b32_e32 v25, 64, v25
	global_load_dwordx2 v[96:97], v22, s[4:5]
	global_load_dwordx2 v[98:99], v23, s[4:5] offset:2048
	global_load_dwordx2 v[100:101], v24, s[4:5]
	global_load_dwordx2 v[102:103], v21, s[4:5] offset:2048
	v_lshlrev_b32_sdwa v21, v27, v26 dst_sel:DWORD dst_unused:UNUSED_PAD src0_sel:DWORD src1_sel:BYTE_0
	v_lshlrev_b32_sdwa v22, v27, v26 dst_sel:DWORD dst_unused:UNUSED_PAD src0_sel:DWORD src1_sel:BYTE_1
	v_mul_lo_u32 v25, v17, v25
	v_and_b32_e32 v26, 15, v35
	v_lshlrev_b32_sdwa v23, v27, v28 dst_sel:DWORD dst_unused:UNUSED_PAD src0_sel:DWORD src1_sel:BYTE_0
	v_lshlrev_b32_sdwa v24, v27, v28 dst_sel:DWORD dst_unused:UNUSED_PAD src0_sel:DWORD src1_sel:BYTE_1
	v_mul_lo_u32 v28, v17, v26
	global_load_dwordx2 v[104:105], v21, s[4:5]
	global_load_dwordx2 v[106:107], v22, s[4:5] offset:2048
	global_load_dwordx2 v[108:109], v23, s[4:5]
	global_load_dwordx2 v[110:111], v24, s[4:5] offset:2048
	v_or_b32_e32 v21, 16, v26
	v_lshlrev_b32_sdwa v29, v27, v25 dst_sel:DWORD dst_unused:UNUSED_PAD src0_sel:DWORD src1_sel:BYTE_0
	v_lshlrev_b32_sdwa v25, v27, v25 dst_sel:DWORD dst_unused:UNUSED_PAD src0_sel:DWORD src1_sel:BYTE_1
	v_mul_lo_u32 v31, v17, v21
	v_or_b32_e32 v21, 32, v26
	v_lshlrev_b32_sdwa v30, v27, v28 dst_sel:DWORD dst_unused:UNUSED_PAD src0_sel:DWORD src1_sel:BYTE_0
	v_lshlrev_b32_sdwa v28, v27, v28 dst_sel:DWORD dst_unused:UNUSED_PAD src0_sel:DWORD src1_sel:BYTE_1
	v_mul_lo_u32 v32, v17, v21
	global_load_dwordx2 v[112:113], v29, s[4:5]
	global_load_dwordx2 v[114:115], v25, s[4:5] offset:2048
	global_load_dwordx2 v[21:22], v30, s[4:5]
	global_load_dwordx2 v[23:24], v28, s[4:5] offset:2048
	v_or_b32_e32 v25, 48, v26
	v_mul_lo_u32 v36, v17, v25
	v_or_b32_e32 v25, 64, v26
	v_mul_lo_u32 v39, v17, v25
	v_lshlrev_b32_sdwa v28, v27, v31 dst_sel:DWORD dst_unused:UNUSED_PAD src0_sel:DWORD src1_sel:BYTE_0
	v_lshlrev_b32_sdwa v31, v27, v31 dst_sel:DWORD dst_unused:UNUSED_PAD src0_sel:DWORD src1_sel:BYTE_1
	v_lshlrev_b32_sdwa v35, v27, v32 dst_sel:DWORD dst_unused:UNUSED_PAD src0_sel:DWORD src1_sel:BYTE_0
	v_lshlrev_b32_sdwa v32, v27, v32 dst_sel:DWORD dst_unused:UNUSED_PAD src0_sel:DWORD src1_sel:BYTE_1
	v_lshlrev_b32_sdwa v61, v27, v36 dst_sel:DWORD dst_unused:UNUSED_PAD src0_sel:DWORD src1_sel:BYTE_0
	global_load_dwordx2 v[33:34], v28, s[4:5]
	global_load_dwordx2 v[37:38], v31, s[4:5] offset:2048
	global_load_dwordx2 v[25:26], v35, s[4:5]
	global_load_dwordx2 v[29:30], v32, s[4:5] offset:2048
	v_lshlrev_b32_sdwa v62, v27, v36 dst_sel:DWORD dst_unused:UNUSED_PAD src0_sel:DWORD src1_sel:BYTE_1
	v_lshlrev_b32_sdwa v117, v27, v39 dst_sel:DWORD dst_unused:UNUSED_PAD src0_sel:DWORD src1_sel:BYTE_0
	v_lshlrev_b32_sdwa v118, v27, v39 dst_sel:DWORD dst_unused:UNUSED_PAD src0_sel:DWORD src1_sel:BYTE_1
	global_load_dwordx2 v[35:36], v61, s[4:5]
	global_load_dwordx2 v[39:40], v62, s[4:5] offset:2048
	global_load_dwordx2 v[27:28], v117, s[4:5]
	global_load_dwordx2 v[31:32], v118, s[4:5] offset:2048
	v_mul_f32_e32 v62, v47, v116
	v_mul_f32_e32 v61, v52, v116
	v_fmac_f32_e32 v62, v52, v58
	v_fma_f32 v61, v47, v58, -v61
	s_waitcnt vmcnt(26)
	v_mul_f32_e32 v52, v54, v57
	v_mul_f32_e32 v47, v55, v57
	v_fmac_f32_e32 v52, v55, v56
	v_fma_f32 v47, v54, v56, -v47
	v_mul_f32_e32 v54, v50, v52
	v_mul_f32_e32 v58, v46, v52
	v_fma_f32 v57, v46, v47, -v54
	v_fmac_f32_e32 v58, v50, v47
	s_waitcnt vmcnt(24)
	v_mul_f32_e32 v47, v59, v87
	v_mul_f32_e32 v46, v60, v87
	v_fmac_f32_e32 v47, v60, v86
	v_fma_f32 v46, v59, v86, -v46
	v_mul_f32_e32 v50, v53, v47
	v_mul_f32_e32 v60, v48, v47
	s_waitcnt vmcnt(22)
	v_mul_f32_e32 v47, v88, v91
	v_fma_f32 v59, v48, v46, -v50
	v_fmac_f32_e32 v60, v53, v46
	v_mul_f32_e32 v46, v89, v91
	v_fmac_f32_e32 v47, v89, v90
	v_fma_f32 v46, v88, v90, -v46
	v_mul_f32_e32 v54, v42, v47
	v_mul_f32_e32 v48, v44, v47
	v_fmac_f32_e32 v54, v44, v46
	s_waitcnt vmcnt(20)
	v_mul_f32_e32 v44, v92, v95
	v_fma_f32 v53, v42, v46, -v48
	v_mul_f32_e32 v42, v93, v95
	v_fmac_f32_e32 v44, v93, v94
	v_fma_f32 v42, v92, v94, -v42
	v_mul_f32_e32 v46, v49, v44
	v_mul_f32_e32 v56, v45, v44
	s_waitcnt vmcnt(18)
	v_mul_f32_e32 v44, v96, v99
	v_fma_f32 v55, v45, v42, -v46
	v_fmac_f32_e32 v56, v49, v42
	v_mul_f32_e32 v42, v97, v99
	v_fmac_f32_e32 v44, v97, v98
	v_fma_f32 v42, v96, v98, -v42
	v_mul_f32_e32 v45, v84, v44
	v_mul_f32_e32 v50, v51, v44
	s_waitcnt vmcnt(16)
	v_mul_f32_e32 v44, v100, v103
	v_fma_f32 v49, v51, v42, -v45
	v_fmac_f32_e32 v50, v84, v42
	;; [unrolled: 9-line block ×4, first 2 shown]
	v_mul_f32_e32 v42, v109, v111
	v_fmac_f32_e32 v44, v109, v110
	v_fma_f32 v42, v108, v110, -v42
	v_mul_f32_e32 v47, v43, v44
	v_mul_f32_e32 v48, v41, v44
	v_fma_f32 v47, v41, v42, -v47
	v_fmac_f32_e32 v48, v43, v42
	s_waitcnt vmcnt(10)
	v_mul_f32_e32 v42, v112, v115
	v_mul_f32_e32 v41, v113, v115
	v_fmac_f32_e32 v42, v113, v114
	v_fma_f32 v41, v112, v114, -v41
	v_mul_f32_e32 v43, v81, v42
	v_mul_f32_e32 v44, v79, v42
	v_fma_f32 v43, v79, v41, -v43
	v_fmac_f32_e32 v44, v81, v41
	s_cbranch_vccnz .LBB0_16
; %bb.15:
	v_mad_u64_u32 v[41:42], s[0:1], s8, v63, 0
	s_movk_i32 s0, 0x32f
	v_mov_b32_e32 v79, 0x50
	v_cmp_lt_u32_e32 vcc, s0, v0
	v_cndmask_b32_e32 v79, 0, v79, vcc
	v_or_b32_e32 v85, v64, v79
	v_mad_u64_u32 v[79:80], s[0:1], s12, v85, 0
	v_mad_u64_u32 v[81:82], s[0:1], s9, v63, v[42:43]
	v_mov_b32_e32 v42, v80
	v_mad_u64_u32 v[82:83], s[0:1], s13, v85, v[42:43]
	v_mov_b32_e32 v42, v81
	s_lshl_b64 s[0:1], s[6:7], 3
	s_add_u32 s0, s14, s0
	v_lshlrev_b64 v[41:42], 3, v[41:42]
	s_addc_u32 s1, s15, s1
	v_mov_b32_e32 v81, s1
	v_add_co_u32_e32 v41, vcc, s0, v41
	v_add_u32_e32 v83, 16, v85
	v_mov_b32_e32 v80, v82
	v_addc_co_u32_e32 v42, vcc, v81, v42, vcc
	v_mad_u64_u32 v[81:82], s[0:1], s12, v83, 0
	v_or_b32_e32 v86, 32, v85
	v_lshlrev_b64 v[79:80], 3, v[79:80]
	v_mad_u64_u32 v[82:83], s[0:1], s13, v83, v[82:83]
	v_mad_u64_u32 v[83:84], s[0:1], s12, v86, 0
	v_add_co_u32_e32 v79, vcc, v41, v79
	v_addc_co_u32_e32 v80, vcc, v42, v80, vcc
	global_store_dwordx2 v[79:80], v[15:16], off
	v_lshlrev_b64 v[79:80], 3, v[81:82]
	v_mov_b32_e32 v81, v84
	v_mad_u64_u32 v[81:82], s[0:1], s13, v86, v[81:82]
	v_add_co_u32_e32 v79, vcc, v41, v79
	v_addc_co_u32_e32 v80, vcc, v42, v80, vcc
	v_mov_b32_e32 v84, v81
	global_store_dwordx2 v[79:80], v[19:20], off
	v_lshlrev_b64 v[79:80], 3, v[83:84]
	v_add_u32_e32 v83, 48, v85
	v_mad_u64_u32 v[81:82], s[0:1], s12, v83, 0
	v_add_u32_e32 v85, 64, v85
	v_add_co_u32_e32 v79, vcc, v41, v79
	v_mad_u64_u32 v[82:83], s[0:1], s13, v83, v[82:83]
	v_mad_u64_u32 v[83:84], s[0:1], s12, v85, 0
	v_addc_co_u32_e32 v80, vcc, v42, v80, vcc
	global_store_dwordx2 v[79:80], v[11:12], off
	v_lshlrev_b64 v[79:80], 3, v[81:82]
	v_mov_b32_e32 v81, v84
	v_mad_u64_u32 v[81:82], s[0:1], s13, v85, v[81:82]
	s_movk_i32 s4, 0xc0
	v_and_or_b32 v85, v78, s4, v66
	v_mov_b32_e32 v84, v81
	v_mad_u64_u32 v[81:82], s[0:1], s12, v85, 0
	v_add_co_u32_e32 v79, vcc, v41, v79
	v_addc_co_u32_e32 v80, vcc, v42, v80, vcc
	global_store_dwordx2 v[79:80], v[13:14], off
	v_lshlrev_b64 v[79:80], 3, v[83:84]
	v_mad_u64_u32 v[82:83], s[0:1], s13, v85, v[82:83]
	v_add_u32_e32 v86, 16, v85
	v_mad_u64_u32 v[83:84], s[0:1], s12, v86, 0
	v_add_co_u32_e32 v79, vcc, v41, v79
	v_addc_co_u32_e32 v80, vcc, v42, v80, vcc
	global_store_dwordx2 v[79:80], v[9:10], off
	v_lshlrev_b64 v[79:80], 3, v[81:82]
	v_mov_b32_e32 v81, v84
	v_mad_u64_u32 v[81:82], s[0:1], s13, v86, v[81:82]
	v_add_co_u32_e32 v79, vcc, v41, v79
	v_addc_co_u32_e32 v80, vcc, v42, v80, vcc
	v_mov_b32_e32 v84, v81
	global_store_dwordx2 v[79:80], v[61:62], off
	v_lshlrev_b64 v[79:80], 3, v[83:84]
	v_add_u32_e32 v83, 32, v85
	v_mad_u64_u32 v[81:82], s[0:1], s12, v83, 0
	v_add_u32_e32 v86, 48, v85
	v_add_co_u32_e32 v79, vcc, v41, v79
	v_mad_u64_u32 v[82:83], s[0:1], s13, v83, v[82:83]
	v_mad_u64_u32 v[83:84], s[0:1], s12, v86, 0
	v_addc_co_u32_e32 v80, vcc, v42, v80, vcc
	global_store_dwordx2 v[79:80], v[57:58], off
	v_lshlrev_b64 v[79:80], 3, v[81:82]
	v_mov_b32_e32 v81, v84
	v_mad_u64_u32 v[81:82], s[0:1], s13, v86, v[81:82]
	v_add_co_u32_e32 v79, vcc, v41, v79
	v_addc_co_u32_e32 v80, vcc, v42, v80, vcc
	v_mov_b32_e32 v84, v81
	global_store_dwordx2 v[79:80], v[59:60], off
	v_lshlrev_b64 v[79:80], 3, v[83:84]
	v_add_u32_e32 v83, 64, v85
	v_mad_u64_u32 v[81:82], s[0:1], s12, v83, 0
	v_and_or_b32 v85, v73, s4, v65
	v_add_co_u32_e32 v79, vcc, v41, v79
	v_mad_u64_u32 v[82:83], s[0:1], s13, v83, v[82:83]
	v_mad_u64_u32 v[83:84], s[0:1], s12, v85, 0
	v_addc_co_u32_e32 v80, vcc, v42, v80, vcc
	global_store_dwordx2 v[79:80], v[53:54], off
	v_lshlrev_b64 v[79:80], 3, v[81:82]
	v_mov_b32_e32 v81, v84
	v_mad_u64_u32 v[81:82], s[0:1], s13, v85, v[81:82]
	v_add_co_u32_e32 v79, vcc, v41, v79
	v_addc_co_u32_e32 v80, vcc, v42, v80, vcc
	v_mov_b32_e32 v84, v81
	global_store_dwordx2 v[79:80], v[55:56], off
	v_lshlrev_b64 v[79:80], 3, v[83:84]
	v_add_u32_e32 v83, 16, v85
	v_mad_u64_u32 v[81:82], s[0:1], s12, v83, 0
	v_add_u32_e32 v86, 32, v85
	v_add_co_u32_e32 v79, vcc, v41, v79
	v_mad_u64_u32 v[82:83], s[0:1], s13, v83, v[82:83]
	v_mad_u64_u32 v[83:84], s[0:1], s12, v86, 0
	v_addc_co_u32_e32 v80, vcc, v42, v80, vcc
	global_store_dwordx2 v[79:80], v[49:50], off
	v_lshlrev_b64 v[79:80], 3, v[81:82]
	v_mov_b32_e32 v81, v84
	v_mad_u64_u32 v[81:82], s[0:1], s13, v86, v[81:82]
	v_add_co_u32_e32 v79, vcc, v41, v79
	v_addc_co_u32_e32 v80, vcc, v42, v80, vcc
	v_mov_b32_e32 v84, v81
	global_store_dwordx2 v[79:80], v[51:52], off
	v_lshlrev_b64 v[79:80], 3, v[83:84]
	v_add_u32_e32 v83, 48, v85
	v_mad_u64_u32 v[81:82], s[0:1], s12, v83, 0
	v_add_u32_e32 v85, 64, v85
	v_add_co_u32_e32 v79, vcc, v41, v79
	v_mad_u64_u32 v[82:83], s[0:1], s13, v83, v[82:83]
	v_mad_u64_u32 v[83:84], s[0:1], s12, v85, 0
	v_addc_co_u32_e32 v80, vcc, v42, v80, vcc
	global_store_dwordx2 v[79:80], v[45:46], off
	v_lshlrev_b64 v[79:80], 3, v[81:82]
	v_mov_b32_e32 v81, v84
	v_mad_u64_u32 v[81:82], s[0:1], s13, v85, v[81:82]
	v_add_co_u32_e32 v79, vcc, v41, v79
	v_addc_co_u32_e32 v80, vcc, v42, v80, vcc
	v_mov_b32_e32 v84, v81
	global_store_dwordx2 v[79:80], v[47:48], off
	v_lshlrev_b64 v[79:80], 3, v[83:84]
	v_add_co_u32_e32 v79, vcc, v41, v79
	v_addc_co_u32_e32 v80, vcc, v42, v80, vcc
	s_and_b64 s[0:1], s[2:3], exec
	global_store_dwordx2 v[79:80], v[43:44], off
	s_cbranch_execz .LBB0_17
	s_branch .LBB0_20
.LBB0_16:
	s_mov_b64 s[0:1], 0
                                        ; implicit-def: $vgpr41_vgpr42
.LBB0_17:
	v_cmp_gt_u64_e32 vcc, s[16:17], v[17:18]
                                        ; implicit-def: $vgpr41_vgpr42
	s_and_saveexec_b64 s[4:5], vcc
	s_cbranch_execz .LBB0_19
; %bb.18:
	v_mad_u64_u32 v[17:18], s[10:11], s8, v63, 0
	s_movk_i32 s8, 0x32f
	v_mov_b32_e32 v41, 0x50
	v_cmp_lt_u32_e32 vcc, s8, v0
	v_cndmask_b32_e32 v0, 0, v41, vcc
	v_or_b32_e32 v82, v64, v0
	v_mad_u64_u32 v[79:80], s[10:11], s12, v82, 0
	v_mov_b32_e32 v0, v18
	v_mad_u64_u32 v[41:42], s[8:9], s9, v63, v[0:1]
	v_mov_b32_e32 v0, v80
	v_mad_u64_u32 v[63:64], s[8:9], s13, v82, v[0:1]
	v_mov_b32_e32 v18, v41
	s_lshl_b64 s[6:7], s[6:7], 3
	s_add_u32 s6, s14, s6
	v_lshlrev_b64 v[17:18], 3, v[17:18]
	s_addc_u32 s7, s15, s7
	v_mov_b32_e32 v80, v63
	v_mov_b32_e32 v0, s7
	v_add_co_u32_e32 v41, vcc, s6, v17
	v_addc_co_u32_e32 v42, vcc, v0, v18, vcc
	v_lshlrev_b64 v[17:18], 3, v[79:80]
	v_add_u32_e32 v79, 16, v82
	v_mad_u64_u32 v[63:64], s[6:7], s12, v79, 0
	v_or_b32_e32 v83, 32, v82
	v_add_co_u32_e32 v17, vcc, v41, v17
	v_mov_b32_e32 v0, v64
	v_mad_u64_u32 v[79:80], s[6:7], s13, v79, v[0:1]
	v_mad_u64_u32 v[80:81], s[6:7], s12, v83, 0
	v_addc_co_u32_e32 v18, vcc, v42, v18, vcc
	v_mov_b32_e32 v64, v79
	global_store_dwordx2 v[17:18], v[15:16], off
	v_lshlrev_b64 v[15:16], 3, v[63:64]
	v_mov_b32_e32 v0, v81
	v_mad_u64_u32 v[17:18], s[6:7], s13, v83, v[0:1]
	v_add_co_u32_e32 v15, vcc, v41, v15
	v_addc_co_u32_e32 v16, vcc, v42, v16, vcc
	global_store_dwordx2 v[15:16], v[19:20], off
	v_add_u32_e32 v19, 48, v82
	v_mov_b32_e32 v81, v17
	v_mad_u64_u32 v[17:18], s[6:7], s12, v19, 0
	v_lshlrev_b64 v[15:16], 3, v[80:81]
	v_add_u32_e32 v63, 64, v82
	v_mov_b32_e32 v0, v18
	v_mad_u64_u32 v[18:19], s[6:7], s13, v19, v[0:1]
	v_add_co_u32_e32 v15, vcc, v41, v15
	v_addc_co_u32_e32 v16, vcc, v42, v16, vcc
	v_mad_u64_u32 v[19:20], s[6:7], s12, v63, 0
	global_store_dwordx2 v[15:16], v[11:12], off
	v_lshlrev_b64 v[11:12], 3, v[17:18]
	s_movk_i32 s8, 0xc0
	v_add_co_u32_e32 v11, vcc, v41, v11
	v_addc_co_u32_e32 v12, vcc, v42, v12, vcc
	v_and_or_b32 v17, v78, s8, v66
	v_mov_b32_e32 v0, v20
	global_store_dwordx2 v[11:12], v[13:14], off
	v_mad_u64_u32 v[13:14], s[6:7], s12, v17, 0
	v_mad_u64_u32 v[15:16], s[6:7], s13, v63, v[0:1]
	v_mov_b32_e32 v0, v14
	v_add_u32_e32 v18, 16, v17
	v_mov_b32_e32 v20, v15
	v_mad_u64_u32 v[14:15], s[6:7], s13, v17, v[0:1]
	v_mad_u64_u32 v[15:16], s[6:7], s12, v18, 0
	v_lshlrev_b64 v[11:12], 3, v[19:20]
	s_andn2_b64 s[0:1], s[0:1], exec
	v_add_co_u32_e32 v11, vcc, v41, v11
	v_addc_co_u32_e32 v12, vcc, v42, v12, vcc
	v_mov_b32_e32 v0, v16
	global_store_dwordx2 v[11:12], v[9:10], off
	v_mad_u64_u32 v[11:12], s[6:7], s13, v18, v[0:1]
	v_lshlrev_b64 v[9:10], 3, v[13:14]
	v_add_u32_e32 v13, 32, v17
	v_mov_b32_e32 v16, v11
	v_mad_u64_u32 v[11:12], s[6:7], s12, v13, 0
	v_add_co_u32_e32 v9, vcc, v41, v9
	v_addc_co_u32_e32 v10, vcc, v42, v10, vcc
	v_mov_b32_e32 v0, v12
	global_store_dwordx2 v[9:10], v[61:62], off
	v_lshlrev_b64 v[9:10], 3, v[15:16]
	v_mad_u64_u32 v[12:13], s[6:7], s13, v13, v[0:1]
	v_add_u32_e32 v15, 48, v17
	v_mad_u64_u32 v[13:14], s[6:7], s12, v15, 0
	v_add_co_u32_e32 v9, vcc, v41, v9
	v_addc_co_u32_e32 v10, vcc, v42, v10, vcc
	v_mov_b32_e32 v0, v14
	global_store_dwordx2 v[9:10], v[57:58], off
	v_lshlrev_b64 v[9:10], 3, v[11:12]
	v_mad_u64_u32 v[11:12], s[6:7], s13, v15, v[0:1]
	v_add_co_u32_e32 v9, vcc, v41, v9
	v_addc_co_u32_e32 v10, vcc, v42, v10, vcc
	v_mov_b32_e32 v14, v11
	global_store_dwordx2 v[9:10], v[59:60], off
	v_lshlrev_b64 v[9:10], 3, v[13:14]
	v_add_u32_e32 v13, 64, v17
	v_mad_u64_u32 v[11:12], s[6:7], s12, v13, 0
	v_and_or_b32 v15, v73, s8, v65
	v_add_co_u32_e32 v9, vcc, v41, v9
	v_mov_b32_e32 v0, v12
	v_mad_u64_u32 v[12:13], s[6:7], s13, v13, v[0:1]
	v_mad_u64_u32 v[13:14], s[6:7], s12, v15, 0
	v_addc_co_u32_e32 v10, vcc, v42, v10, vcc
	v_mov_b32_e32 v0, v14
	global_store_dwordx2 v[9:10], v[53:54], off
	v_lshlrev_b64 v[9:10], 3, v[11:12]
	v_mad_u64_u32 v[11:12], s[6:7], s13, v15, v[0:1]
	v_add_co_u32_e32 v9, vcc, v41, v9
	v_addc_co_u32_e32 v10, vcc, v42, v10, vcc
	v_mov_b32_e32 v14, v11
	global_store_dwordx2 v[9:10], v[55:56], off
	v_lshlrev_b64 v[9:10], 3, v[13:14]
	v_add_u32_e32 v13, 16, v15
	v_mad_u64_u32 v[11:12], s[6:7], s12, v13, 0
	v_add_u32_e32 v16, 32, v15
	v_add_co_u32_e32 v9, vcc, v41, v9
	v_mov_b32_e32 v0, v12
	v_mad_u64_u32 v[12:13], s[6:7], s13, v13, v[0:1]
	v_mad_u64_u32 v[13:14], s[6:7], s12, v16, 0
	v_addc_co_u32_e32 v10, vcc, v42, v10, vcc
	v_mov_b32_e32 v0, v14
	global_store_dwordx2 v[9:10], v[49:50], off
	v_lshlrev_b64 v[9:10], 3, v[11:12]
	v_mad_u64_u32 v[11:12], s[6:7], s13, v16, v[0:1]
	v_add_co_u32_e32 v9, vcc, v41, v9
	v_addc_co_u32_e32 v10, vcc, v42, v10, vcc
	v_mov_b32_e32 v14, v11
	global_store_dwordx2 v[9:10], v[51:52], off
	v_lshlrev_b64 v[9:10], 3, v[13:14]
	v_add_u32_e32 v13, 48, v15
	v_mad_u64_u32 v[11:12], s[6:7], s12, v13, 0
	v_add_u32_e32 v15, 64, v15
	v_add_co_u32_e32 v9, vcc, v41, v9
	v_mov_b32_e32 v0, v12
	v_mad_u64_u32 v[12:13], s[6:7], s13, v13, v[0:1]
	v_mad_u64_u32 v[13:14], s[6:7], s12, v15, 0
	v_addc_co_u32_e32 v10, vcc, v42, v10, vcc
	v_mov_b32_e32 v0, v14
	global_store_dwordx2 v[9:10], v[45:46], off
	v_lshlrev_b64 v[9:10], 3, v[11:12]
	v_mad_u64_u32 v[11:12], s[6:7], s13, v15, v[0:1]
	v_add_co_u32_e32 v9, vcc, v41, v9
	v_addc_co_u32_e32 v10, vcc, v42, v10, vcc
	v_mov_b32_e32 v14, v11
	global_store_dwordx2 v[9:10], v[47:48], off
	v_lshlrev_b64 v[9:10], 3, v[13:14]
	s_and_b64 s[2:3], s[2:3], exec
	v_add_co_u32_e32 v9, vcc, v41, v9
	v_addc_co_u32_e32 v10, vcc, v42, v10, vcc
	s_or_b64 s[0:1], s[0:1], s[2:3]
	global_store_dwordx2 v[9:10], v[43:44], off
.LBB0_19:
	s_or_b64 exec, exec, s[4:5]
.LBB0_20:
	s_and_saveexec_b64 s[2:3], s[0:1]
	s_cbranch_execnz .LBB0_22
; %bb.21:
	s_endpgm
.LBB0_22:
	v_mul_f32_e32 v0, v77, v6
	v_mul_f32_e32 v6, v72, v6
	v_fma_f32 v0, v72, v5, -v0
	v_fmac_f32_e32 v6, v77, v5
	v_mul_f32_e32 v5, v76, v8
	v_mul_f32_e32 v8, v71, v8
	v_fma_f32 v5, v71, v7, -v5
	v_fmac_f32_e32 v8, v76, v7
	v_mul_f32_e32 v7, v75, v2
	v_fma_f32 v7, v70, v1, -v7
	v_mul_f32_e32 v2, v70, v2
	v_fmac_f32_e32 v2, v75, v1
	v_mul_f32_e32 v1, v74, v4
	v_mul_f32_e32 v4, v69, v4
	v_add_f32_e32 v9, v5, v7
	v_fmac_f32_e32 v4, v74, v3
	v_fma_f32 v9, -0.5, v9, v67
	v_fma_f32 v1, v69, v3, -v1
	v_sub_f32_e32 v10, v6, v4
	v_mov_b32_e32 v11, v9
	v_fmac_f32_e32 v11, 0x3f737871, v10
	v_sub_f32_e32 v12, v8, v2
	v_sub_f32_e32 v13, v0, v5
	;; [unrolled: 1-line block ×3, first 2 shown]
	v_fmac_f32_e32 v9, 0xbf737871, v10
	v_fmac_f32_e32 v11, 0x3f167918, v12
	v_add_f32_e32 v13, v13, v14
	v_fmac_f32_e32 v9, 0xbf167918, v12
	v_fmac_f32_e32 v11, 0x3e9e377a, v13
	;; [unrolled: 1-line block ×3, first 2 shown]
	v_add_f32_e32 v13, v0, v1
	v_add_f32_e32 v3, v67, v0
	v_fmac_f32_e32 v67, -0.5, v13
	v_mov_b32_e32 v13, v67
	v_fmac_f32_e32 v13, 0xbf737871, v12
	v_sub_f32_e32 v14, v5, v0
	v_sub_f32_e32 v15, v7, v1
	v_fmac_f32_e32 v67, 0x3f737871, v12
	v_add_f32_e32 v12, v8, v2
	v_add_f32_e32 v3, v3, v5
	v_fmac_f32_e32 v13, 0x3f167918, v10
	v_add_f32_e32 v14, v14, v15
	v_fmac_f32_e32 v67, 0xbf167918, v10
	v_fma_f32 v12, -0.5, v12, v68
	v_add_f32_e32 v3, v3, v7
	v_fmac_f32_e32 v13, 0x3e9e377a, v14
	v_fmac_f32_e32 v67, 0x3e9e377a, v14
	v_sub_f32_e32 v0, v0, v1
	v_mov_b32_e32 v14, v12
	v_add_f32_e32 v3, v3, v1
	v_fmac_f32_e32 v14, 0xbf737871, v0
	v_sub_f32_e32 v1, v5, v7
	v_sub_f32_e32 v5, v6, v8
	;; [unrolled: 1-line block ×3, first 2 shown]
	v_fmac_f32_e32 v12, 0x3f737871, v0
	v_fmac_f32_e32 v14, 0xbf167918, v1
	v_add_f32_e32 v5, v5, v7
	v_fmac_f32_e32 v12, 0x3f167918, v1
	v_fmac_f32_e32 v14, 0x3e9e377a, v5
	v_fmac_f32_e32 v12, 0x3e9e377a, v5
	v_add_f32_e32 v5, v6, v4
	v_add_f32_e32 v10, v68, v6
	v_fmac_f32_e32 v68, -0.5, v5
	v_add_f32_e32 v10, v10, v8
	v_mov_b32_e32 v7, v68
	v_add_f32_e32 v10, v10, v2
	v_fmac_f32_e32 v7, 0x3f737871, v1
	v_sub_f32_e32 v5, v8, v6
	v_sub_f32_e32 v2, v2, v4
	v_fmac_f32_e32 v68, 0xbf737871, v1
	s_waitcnt vmcnt(8)
	v_mul_f32_e32 v1, v21, v24
	v_add_f32_e32 v10, v10, v4
	v_fmac_f32_e32 v7, 0xbf167918, v0
	v_add_f32_e32 v2, v5, v2
	v_fmac_f32_e32 v68, 0x3f167918, v0
	v_mul_f32_e32 v0, v22, v24
	v_fmac_f32_e32 v1, v22, v23
	v_fmac_f32_e32 v7, 0x3e9e377a, v2
	;; [unrolled: 1-line block ×3, first 2 shown]
	v_fma_f32 v2, v21, v23, -v0
	v_mul_f32_e32 v0, v10, v1
	v_fma_f32 v0, v3, v2, -v0
	v_mul_f32_e32 v1, v3, v1
	s_waitcnt vmcnt(6)
	v_mul_f32_e32 v3, v33, v38
	v_fmac_f32_e32 v1, v10, v2
	v_mul_f32_e32 v2, v34, v38
	v_fmac_f32_e32 v3, v34, v37
	v_fma_f32 v4, v33, v37, -v2
	v_mul_f32_e32 v2, v14, v3
	v_mov_b32_e32 v10, 0x78
	v_fma_f32 v2, v11, v4, -v2
	v_mul_f32_e32 v3, v11, v3
	v_mad_u64_u32 v[10:11], s[0:1], s12, v10, v[41:42]
	s_mul_i32 s0, s13, 0x78
	s_waitcnt vmcnt(4)
	v_mul_f32_e32 v5, v25, v30
	v_add_u32_e32 v11, s0, v11
	global_store_dwordx2 v[10:11], v[0:1], off
	v_mov_b32_e32 v0, 0xf8
	v_mad_u64_u32 v[0:1], s[0:1], s12, v0, v[41:42]
	v_mov_b32_e32 v10, 0x178
	v_fmac_f32_e32 v3, v14, v4
	v_mul_f32_e32 v4, v26, v30
	v_fmac_f32_e32 v5, v26, v29
	v_mad_u64_u32 v[10:11], s[0:1], s12, v10, v[41:42]
	v_fma_f32 v6, v25, v29, -v4
	v_mul_f32_e32 v4, v7, v5
	v_mul_f32_e32 v5, v13, v5
	s_mul_i32 s2, s13, 0xf8
	v_fmac_f32_e32 v5, v7, v6
	s_waitcnt vmcnt(3)
	v_mul_f32_e32 v7, v35, v40
	v_add_u32_e32 v1, s2, v1
	v_fma_f32 v4, v13, v6, -v4
	v_mul_f32_e32 v6, v36, v40
	v_fmac_f32_e32 v7, v36, v39
	global_store_dwordx2 v[0:1], v[2:3], off
	s_mul_i32 s0, s13, 0x178
	v_mov_b32_e32 v0, 0x1f8
	v_mov_b32_e32 v2, 0x278
	v_fma_f32 v8, v35, v39, -v6
	v_mul_f32_e32 v6, v68, v7
	v_mul_f32_e32 v7, v67, v7
	s_waitcnt vmcnt(2)
	v_mul_f32_e32 v14, v27, v32
	v_add_u32_e32 v11, s0, v11
	v_mad_u64_u32 v[0:1], s[0:1], s12, v0, v[41:42]
	v_mad_u64_u32 v[2:3], s[0:1], s12, v2, v[41:42]
	v_fma_f32 v6, v67, v8, -v6
	v_fmac_f32_e32 v7, v68, v8
	v_mul_f32_e32 v8, v28, v32
	v_fmac_f32_e32 v14, v28, v31
	v_fma_f32 v13, v27, v31, -v8
	v_mul_f32_e32 v8, v12, v14
	v_fma_f32 v8, v9, v13, -v8
	v_mul_f32_e32 v9, v9, v14
	s_mul_i32 s2, s13, 0x1f8
	s_mul_i32 s0, s13, 0x278
	v_fmac_f32_e32 v9, v12, v13
	v_add_u32_e32 v1, s2, v1
	v_add_u32_e32 v3, s0, v3
	global_store_dwordx2 v[10:11], v[4:5], off
	global_store_dwordx2 v[0:1], v[6:7], off
	;; [unrolled: 1-line block ×3, first 2 shown]
	s_endpgm
	.section	.rodata,"a",@progbits
	.p2align	6, 0x0
	.amdhsa_kernel fft_rtc_fwd_len80_factors_2_2_4_5_wgs_255_tpt_5_halfLds_dim2_sp_ip_CI_sbcc_twdbase8_2step_dirReg
		.amdhsa_group_segment_fixed_size 0
		.amdhsa_private_segment_fixed_size 0
		.amdhsa_kernarg_size 88
		.amdhsa_user_sgpr_count 6
		.amdhsa_user_sgpr_private_segment_buffer 1
		.amdhsa_user_sgpr_dispatch_ptr 0
		.amdhsa_user_sgpr_queue_ptr 0
		.amdhsa_user_sgpr_kernarg_segment_ptr 1
		.amdhsa_user_sgpr_dispatch_id 0
		.amdhsa_user_sgpr_flat_scratch_init 0
		.amdhsa_user_sgpr_private_segment_size 0
		.amdhsa_uses_dynamic_stack 0
		.amdhsa_system_sgpr_private_segment_wavefront_offset 0
		.amdhsa_system_sgpr_workgroup_id_x 1
		.amdhsa_system_sgpr_workgroup_id_y 0
		.amdhsa_system_sgpr_workgroup_id_z 0
		.amdhsa_system_sgpr_workgroup_info 0
		.amdhsa_system_vgpr_workitem_id 0
		.amdhsa_next_free_vgpr 119
		.amdhsa_next_free_sgpr 24
		.amdhsa_reserve_vcc 1
		.amdhsa_reserve_flat_scratch 0
		.amdhsa_float_round_mode_32 0
		.amdhsa_float_round_mode_16_64 0
		.amdhsa_float_denorm_mode_32 3
		.amdhsa_float_denorm_mode_16_64 3
		.amdhsa_dx10_clamp 1
		.amdhsa_ieee_mode 1
		.amdhsa_fp16_overflow 0
		.amdhsa_exception_fp_ieee_invalid_op 0
		.amdhsa_exception_fp_denorm_src 0
		.amdhsa_exception_fp_ieee_div_zero 0
		.amdhsa_exception_fp_ieee_overflow 0
		.amdhsa_exception_fp_ieee_underflow 0
		.amdhsa_exception_fp_ieee_inexact 0
		.amdhsa_exception_int_div_zero 0
	.end_amdhsa_kernel
	.text
.Lfunc_end0:
	.size	fft_rtc_fwd_len80_factors_2_2_4_5_wgs_255_tpt_5_halfLds_dim2_sp_ip_CI_sbcc_twdbase8_2step_dirReg, .Lfunc_end0-fft_rtc_fwd_len80_factors_2_2_4_5_wgs_255_tpt_5_halfLds_dim2_sp_ip_CI_sbcc_twdbase8_2step_dirReg
                                        ; -- End function
	.section	.AMDGPU.csdata,"",@progbits
; Kernel info:
; codeLenInByte = 11288
; NumSgprs: 28
; NumVgprs: 119
; ScratchSize: 0
; MemoryBound: 0
; FloatMode: 240
; IeeeMode: 1
; LDSByteSize: 0 bytes/workgroup (compile time only)
; SGPRBlocks: 3
; VGPRBlocks: 29
; NumSGPRsForWavesPerEU: 28
; NumVGPRsForWavesPerEU: 119
; Occupancy: 2
; WaveLimiterHint : 1
; COMPUTE_PGM_RSRC2:SCRATCH_EN: 0
; COMPUTE_PGM_RSRC2:USER_SGPR: 6
; COMPUTE_PGM_RSRC2:TRAP_HANDLER: 0
; COMPUTE_PGM_RSRC2:TGID_X_EN: 1
; COMPUTE_PGM_RSRC2:TGID_Y_EN: 0
; COMPUTE_PGM_RSRC2:TGID_Z_EN: 0
; COMPUTE_PGM_RSRC2:TIDIG_COMP_CNT: 0
	.type	__hip_cuid_8fcd791c9dfbc767,@object ; @__hip_cuid_8fcd791c9dfbc767
	.section	.bss,"aw",@nobits
	.globl	__hip_cuid_8fcd791c9dfbc767
__hip_cuid_8fcd791c9dfbc767:
	.byte	0                               ; 0x0
	.size	__hip_cuid_8fcd791c9dfbc767, 1

	.ident	"AMD clang version 19.0.0git (https://github.com/RadeonOpenCompute/llvm-project roc-6.4.0 25133 c7fe45cf4b819c5991fe208aaa96edf142730f1d)"
	.section	".note.GNU-stack","",@progbits
	.addrsig
	.addrsig_sym __hip_cuid_8fcd791c9dfbc767
	.amdgpu_metadata
---
amdhsa.kernels:
  - .args:
      - .actual_access:  read_only
        .address_space:  global
        .offset:         0
        .size:           8
        .value_kind:     global_buffer
      - .address_space:  global
        .offset:         8
        .size:           8
        .value_kind:     global_buffer
      - .actual_access:  read_only
        .address_space:  global
        .offset:         16
        .size:           8
        .value_kind:     global_buffer
      - .actual_access:  read_only
        .address_space:  global
        .offset:         24
        .size:           8
        .value_kind:     global_buffer
      - .offset:         32
        .size:           8
        .value_kind:     by_value
      - .actual_access:  read_only
        .address_space:  global
        .offset:         40
        .size:           8
        .value_kind:     global_buffer
      - .actual_access:  read_only
        .address_space:  global
        .offset:         48
        .size:           8
        .value_kind:     global_buffer
      - .offset:         56
        .size:           4
        .value_kind:     by_value
      - .actual_access:  read_only
        .address_space:  global
        .offset:         64
        .size:           8
        .value_kind:     global_buffer
      - .actual_access:  read_only
        .address_space:  global
        .offset:         72
        .size:           8
        .value_kind:     global_buffer
      - .address_space:  global
        .offset:         80
        .size:           8
        .value_kind:     global_buffer
    .group_segment_fixed_size: 0
    .kernarg_segment_align: 8
    .kernarg_segment_size: 88
    .language:       OpenCL C
    .language_version:
      - 2
      - 0
    .max_flat_workgroup_size: 255
    .name:           fft_rtc_fwd_len80_factors_2_2_4_5_wgs_255_tpt_5_halfLds_dim2_sp_ip_CI_sbcc_twdbase8_2step_dirReg
    .private_segment_fixed_size: 0
    .sgpr_count:     28
    .sgpr_spill_count: 0
    .symbol:         fft_rtc_fwd_len80_factors_2_2_4_5_wgs_255_tpt_5_halfLds_dim2_sp_ip_CI_sbcc_twdbase8_2step_dirReg.kd
    .uniform_work_group_size: 1
    .uses_dynamic_stack: false
    .vgpr_count:     119
    .vgpr_spill_count: 0
    .wavefront_size: 64
amdhsa.target:   amdgcn-amd-amdhsa--gfx906
amdhsa.version:
  - 1
  - 2
...

	.end_amdgpu_metadata
